;; amdgpu-corpus repo=ROCm/aiter kind=harvested arch=n/a opt=n/a

/root/src/amdgpu-assembly/repos/ROCm__aiter/hsa/gfx942/fmoe_2stages/fmoe_stage1_bf16_pertokenFp8_g1u1_160x128_pf3.co:	file format elf64-amdgpu

Disassembly of section .text:

0000000000002a00 <_ZN5aiter45fmoe_stage1_bf16_pertokenFp8_g1u1_160x128_pf3E>:
	s_and_b32 s1, s1, 0xffff                                   // 000000002A00: 8601FF01 0000FFFF
	s_load_dwordx2 s[8:9], s[0:1], 0x0                         // 000000002A08: C0060200 00000000
	s_load_dwordx2 s[20:21], s[0:1], 0x10                      // 000000002A10: C0060500 00000010
	s_load_dwordx2 s[24:25], s[0:1], 0x20                      // 000000002A18: C0060600 00000020
	s_load_dwordx2 s[48:49], s[0:1], 0x30                      // 000000002A20: C0060C00 00000030
	s_load_dwordx2 s[28:29], s[0:1], 0x40                      // 000000002A28: C0060700 00000040
	s_load_dwordx2 s[32:33], s[0:1], 0x50                      // 000000002A30: C0060800 00000050
	s_load_dwordx2 s[36:37], s[0:1], 0x60                      // 000000002A38: C0060900 00000060
	s_load_dwordx2 s[12:13], s[0:1], 0x70                      // 000000002A40: C0060300 00000070
	s_load_dwordx2 s[44:45], s[0:1], 0x80                      // 000000002A48: C0060B00 00000080
	s_mov_b32 s89, 0                                           // 000000002A50: BED90080
	s_load_dword s64, s[0:1], 0x90                             // 000000002A54: C0021000 00000090
	s_load_dword s65, s[0:1], 0xa0                             // 000000002A5C: C0021040 000000A0
	s_load_dword s66, s[0:1], 0xb0                             // 000000002A64: C0021080 000000B0
	s_load_dword s67, s[0:1], 0xc0                             // 000000002A6C: C00210C0 000000C0
	s_load_dword s68, s[0:1], 0xd0                             // 000000002A74: C0021100 000000D0
	s_load_dword s69, s[0:1], 0xe0                             // 000000002A7C: C0021140 000000E0
	s_load_dword s71, s[0:1], 0xf0                             // 000000002A84: C00211C0 000000F0
	s_load_dword s72, s[0:1], 0x100                            // 000000002A8C: C0021200 00000100
	s_load_dword s74, s[0:1], 0x110                            // 000000002A94: C0021280 00000110
	s_load_dword s76, s[0:1], 0x120                            // 000000002A9C: C0021300 00000120
	s_load_dword s56, s[0:1], 0x130                            // 000000002AA4: C0020E00 00000130
	s_load_dword s88, s[0:1], 0x140                            // 000000002AAC: C0021600 00000140
	s_load_dword s89, s[0:1], 0x150                            // 000000002AB4: C0021640 00000150
	v_lshrrev_b32_e32 v1, 10, v0                               // 000000002ABC: 2002008A
	v_lshrrev_b32_e32 v2, 10, v1                               // 000000002AC0: 2004028A
	v_and_b32_e32 v2, 0x3ff, v2                                // 000000002AC4: 260404FF 000003FF
	v_and_b32_e32 v1, 0x3ff, v1                                // 000000002ACC: 260202FF 000003FF
	v_and_b32_e32 v0, 0x3ff, v0                                // 000000002AD4: 260000FF 000003FF
	v_lshrrev_b32_e32 v3, 6, v0                                // 000000002ADC: 20060086
	v_and_b32_e32 v0, 63, v0                                   // 000000002AE0: 260000BF
	s_mov_b32 s2, s2                                           // 000000002AE4: BE820002
	s_mov_b32 s3, s3                                           // 000000002AE8: BE830003
	s_mov_b32 s4, s4                                           // 000000002AEC: BE840004
	v_readfirstlane_b32 s7, v3                                 // 000000002AF0: 7E0E0503
	s_waitcnt lgkmcnt(0)                                       // 000000002AF4: BF8CC07F
	s_and_b32 s49, s49, 0xffff                                 // 000000002AF8: 8631FF31 0000FFFF
	s_load_dword s48, s[48:49], 0x0                            // 000000002B00: C0020C18 00000000
	s_and_b32 s45, s45, 0xffff                                 // 000000002B08: 862DFF2D 0000FFFF
	s_and_b32 s9, s9, 0xffff                                   // 000000002B10: 8609FF09 0000FFFF
	s_mul_i32 s60, s66, s68                                    // 000000002B18: 923C4442
	s_mul_i32 s61, s66, 4                                      // 000000002B1C: 923D8442
	s_mov_b32 s22, s60                                         // 000000002B20: BE96003C
	s_mov_b32 s26, -16                                         // 000000002B24: BE9A00D0
	s_mov_b32 s30, s61                                         // 000000002B28: BE9E003D
	s_mov_b32 s14, 0x280                                       // 000000002B2C: BE8E00FF 00000280
	s_mov_b32 s38, -16                                         // 000000002B34: BEA600D0
	s_mov_b32 s10, -16                                         // 000000002B38: BE8A00D0
	s_mov_b32 s34, 0x200                                       // 000000002B3C: BEA200FF 00000200
	s_mov_b32 s23, 0x20000                                     // 000000002B44: BE9700FF 00020000
	s_mov_b32 s27, 0x20000                                     // 000000002B4C: BE9B00FF 00020000
	s_mov_b32 s31, 0x20000                                     // 000000002B54: BE9F00FF 00020000
	s_mov_b32 s35, 0x20000                                     // 000000002B5C: BEA300FF 00020000
	s_mov_b32 s15, 0x20000                                     // 000000002B64: BE8F00FF 00020000
	s_mov_b32 s39, 0x20000                                     // 000000002B6C: BEA700FF 00020000
	s_mov_b32 s11, 0x20000                                     // 000000002B74: BE8B00FF 00020000
	s_and_b32 s21, s21, 0xffff                                 // 000000002B7C: 8615FF15 0000FFFF
	s_and_b32 s25, s25, 0xffff                                 // 000000002B84: 8619FF19 0000FFFF
	s_and_b32 s29, s29, 0xffff                                 // 000000002B8C: 861DFF1D 0000FFFF
	s_and_b32 s33, s33, 0xffff                                 // 000000002B94: 8621FF21 0000FFFF
	s_and_b32 s13, s13, 0xffff                                 // 000000002B9C: 860DFF0D 0000FFFF
	s_and_b32 s37, s37, 0xffff                                 // 000000002BA4: 8625FF25 0000FFFF
	s_or_b32 s21, s21, 0x40000                                 // 000000002BAC: 8715FF15 00040000
	s_or_b32 s25, s25, 0x40000                                 // 000000002BB4: 8719FF19 00040000
	s_or_b32 s29, s29, 0x40000                                 // 000000002BBC: 871DFF1D 00040000
	s_or_b32 s33, s33, 0x40000                                 // 000000002BC4: 8721FF21 00040000
	s_or_b32 s13, s13, 0x40000                                 // 000000002BCC: 870DFF0D 00040000
	s_or_b32 s37, s37, 0x40000                                 // 000000002BD4: 8725FF25 00040000
	v_accvgpr_write_b32 a207, 0                                // 000000002BDC: D3D940CF 18000080
	v_mov_b32_e32 v251, 0                                      // 000000002BE4: 7FF60280
	s_waitcnt lgkmcnt(0)                                       // 000000002BE8: BF8CC07F
	s_mul_i32 s60, s3, 0xa0                                    // 000000002BEC: 923CFF03 000000A0
	s_cmp_lt_i32 s60, s48                                      // 000000002BF4: BF04303C
	s_cbranch_scc0 label_49FE                                  // 000000002BF8: BF84497C
	s_mov_b32 s80, 0                                           // 000000002BFC: BED00080
	s_lshr_b32 s81, s64, s88                                   // 000000002C00: 8F515840
	s_mul_i32 s60, s3, 4                                       // 000000002C04: 923C8403
	s_add_u32 s44, s60, s44                                    // 000000002C08: 802C2C3C
	s_addc_u32 s45, 0, s45                                     // 000000002C0C: 822D2D80
	s_load_dword s5, s[44:45], 0x0                             // 000000002C10: C0020156 00000000
	s_mul_i32 s60, s3, 0xa0                                    // 000000002C18: 923CFF03 000000A0
	s_mul_i32 s60, 4, s60                                      // 000000002C20: 923C3C84
	s_add_u32 s12, s60, s12                                    // 000000002C24: 800C0C3C
	s_addc_u32 s13, 0, s13                                     // 000000002C28: 820D0D80
	v_and_b32_e32 v4, 15, v0                                   // 000000002C2C: 2608008F
	v_lshlrev_b32_e32 v4, 2, v4                                // 000000002C30: 24080882
	buffer_load_dword v30, v4, s[12:15], 0 offen               // 000000002C34: E0501000 80031E04
	v_add_u32_e32 v4, 64, v4                                   // 000000002C3C: 680808C0
	buffer_load_dword v31, v4, s[12:15], 0 offen               // 000000002C40: E0501000 80031F04
	v_add_u32_e32 v4, 64, v4                                   // 000000002C48: 680808C0
	buffer_load_dword v32, v4, s[12:15], 0 offen               // 000000002C4C: E0501000 80032004
	v_add_u32_e32 v4, 64, v4                                   // 000000002C54: 680808C0
	buffer_load_dword v33, v4, s[12:15], 0 offen               // 000000002C58: E0501000 80032104
	v_add_u32_e32 v4, 64, v4                                   // 000000002C60: 680808C0
	buffer_load_dword v34, v4, s[12:15], 0 offen               // 000000002C64: E0501000 80032204
	v_add_u32_e32 v4, 64, v4                                   // 000000002C6C: 680808C0
	buffer_load_dword v35, v4, s[12:15], 0 offen               // 000000002C70: E0501000 80032304
	v_add_u32_e32 v4, 64, v4                                   // 000000002C78: 680808C0
	buffer_load_dword v36, v4, s[12:15], 0 offen               // 000000002C7C: E0501000 80032404
	v_add_u32_e32 v4, 64, v4                                   // 000000002C84: 680808C0
	buffer_load_dword v37, v4, s[12:15], 0 offen               // 000000002C88: E0501000 80032504
	v_add_u32_e32 v4, 64, v4                                   // 000000002C90: 680808C0
	buffer_load_dword v38, v4, s[12:15], 0 offen               // 000000002C94: E0501000 80032604
	v_add_u32_e32 v4, 64, v4                                   // 000000002C9C: 680808C0
	buffer_load_dword v39, v4, s[12:15], 0 offen               // 000000002CA0: E0501000 80032704
	v_add_u32_e32 v4, 64, v4                                   // 000000002CA8: 680808C0
	s_mul_i32 s60, 4, s7                                       // 000000002CAC: 923C0784
	v_lshlrev_b32_e32 v4, 4, v0                                // 000000002CB0: 24080084
	v_add_u32_e32 v4, s60, v4                                  // 000000002CB4: 6808083C
	buffer_load_dword v3, v4, s[12:15], 0 offen                // 000000002CB8: E0501000 80030304
	v_mov_b32_e32 v92, 0                                       // 000000002CC0: 7EB80280
	v_mov_b32_e32 v172, 0                                      // 000000002CC4: 7F580280
	v_mov_b32_e32 v93, 0                                       // 000000002CC8: 7EBA0280
	v_mov_b32_e32 v173, 0                                      // 000000002CCC: 7F5A0280
	v_mov_b32_e32 v94, 0                                       // 000000002CD0: 7EBC0280
	v_mov_b32_e32 v174, 0                                      // 000000002CD4: 7F5C0280
	v_mov_b32_e32 v95, 0                                       // 000000002CD8: 7EBE0280
	v_mov_b32_e32 v175, 0                                      // 000000002CDC: 7F5E0280
	v_mov_b32_e32 v96, 0                                       // 000000002CE0: 7EC00280
	v_mov_b32_e32 v176, 0                                      // 000000002CE4: 7F600280
	v_mov_b32_e32 v97, 0                                       // 000000002CE8: 7EC20280
	v_mov_b32_e32 v177, 0                                      // 000000002CEC: 7F620280
	v_mov_b32_e32 v98, 0                                       // 000000002CF0: 7EC40280
	v_mov_b32_e32 v178, 0                                      // 000000002CF4: 7F640280
	v_mov_b32_e32 v99, 0                                       // 000000002CF8: 7EC60280
	v_mov_b32_e32 v179, 0                                      // 000000002CFC: 7F660280
	v_mov_b32_e32 v100, 0                                      // 000000002D00: 7EC80280
	v_mov_b32_e32 v180, 0                                      // 000000002D04: 7F680280
	v_mov_b32_e32 v101, 0                                      // 000000002D08: 7ECA0280
	v_mov_b32_e32 v181, 0                                      // 000000002D0C: 7F6A0280
	v_mov_b32_e32 v102, 0                                      // 000000002D10: 7ECC0280
	v_mov_b32_e32 v182, 0                                      // 000000002D14: 7F6C0280
	v_mov_b32_e32 v103, 0                                      // 000000002D18: 7ECE0280
	v_mov_b32_e32 v183, 0                                      // 000000002D1C: 7F6E0280
	v_mov_b32_e32 v104, 0                                      // 000000002D20: 7ED00280
	v_mov_b32_e32 v184, 0                                      // 000000002D24: 7F700280
	v_mov_b32_e32 v105, 0                                      // 000000002D28: 7ED20280
	v_mov_b32_e32 v185, 0                                      // 000000002D2C: 7F720280
	v_mov_b32_e32 v106, 0                                      // 000000002D30: 7ED40280
	v_mov_b32_e32 v186, 0                                      // 000000002D34: 7F740280
	v_mov_b32_e32 v107, 0                                      // 000000002D38: 7ED60280
	v_mov_b32_e32 v187, 0                                      // 000000002D3C: 7F760280
	v_mov_b32_e32 v108, 0                                      // 000000002D40: 7ED80280
	v_mov_b32_e32 v188, 0                                      // 000000002D44: 7F780280
	v_mov_b32_e32 v109, 0                                      // 000000002D48: 7EDA0280
	v_mov_b32_e32 v189, 0                                      // 000000002D4C: 7F7A0280
	v_mov_b32_e32 v110, 0                                      // 000000002D50: 7EDC0280
	v_mov_b32_e32 v190, 0                                      // 000000002D54: 7F7C0280
	v_mov_b32_e32 v111, 0                                      // 000000002D58: 7EDE0280
	v_mov_b32_e32 v191, 0                                      // 000000002D5C: 7F7E0280
	v_mov_b32_e32 v112, 0                                      // 000000002D60: 7EE00280
	v_mov_b32_e32 v192, 0                                      // 000000002D64: 7F800280
	v_mov_b32_e32 v113, 0                                      // 000000002D68: 7EE20280
	v_mov_b32_e32 v193, 0                                      // 000000002D6C: 7F820280
	v_mov_b32_e32 v114, 0                                      // 000000002D70: 7EE40280
	v_mov_b32_e32 v194, 0                                      // 000000002D74: 7F840280
	v_mov_b32_e32 v115, 0                                      // 000000002D78: 7EE60280
	v_mov_b32_e32 v195, 0                                      // 000000002D7C: 7F860280
	v_mov_b32_e32 v116, 0                                      // 000000002D80: 7EE80280
	v_mov_b32_e32 v196, 0                                      // 000000002D84: 7F880280
	v_mov_b32_e32 v117, 0                                      // 000000002D88: 7EEA0280
	v_mov_b32_e32 v197, 0                                      // 000000002D8C: 7F8A0280
	v_mov_b32_e32 v118, 0                                      // 000000002D90: 7EEC0280
	v_mov_b32_e32 v198, 0                                      // 000000002D94: 7F8C0280
	v_mov_b32_e32 v119, 0                                      // 000000002D98: 7EEE0280
	v_mov_b32_e32 v199, 0                                      // 000000002D9C: 7F8E0280
	v_mov_b32_e32 v120, 0                                      // 000000002DA0: 7EF00280
	v_mov_b32_e32 v200, 0                                      // 000000002DA4: 7F900280
	v_mov_b32_e32 v121, 0                                      // 000000002DA8: 7EF20280
	v_mov_b32_e32 v201, 0                                      // 000000002DAC: 7F920280
	v_mov_b32_e32 v122, 0                                      // 000000002DB0: 7EF40280
	v_mov_b32_e32 v202, 0                                      // 000000002DB4: 7F940280
	v_mov_b32_e32 v123, 0                                      // 000000002DB8: 7EF60280
	v_mov_b32_e32 v203, 0                                      // 000000002DBC: 7F960280
	v_mov_b32_e32 v124, 0                                      // 000000002DC0: 7EF80280
	v_mov_b32_e32 v204, 0                                      // 000000002DC4: 7F980280
	v_mov_b32_e32 v125, 0                                      // 000000002DC8: 7EFA0280
	v_mov_b32_e32 v205, 0                                      // 000000002DCC: 7F9A0280
	v_mov_b32_e32 v126, 0                                      // 000000002DD0: 7EFC0280
	v_mov_b32_e32 v206, 0                                      // 000000002DD4: 7F9C0280
	v_mov_b32_e32 v127, 0                                      // 000000002DD8: 7EFE0280
	v_mov_b32_e32 v207, 0                                      // 000000002DDC: 7F9E0280
	v_mov_b32_e32 v128, 0                                      // 000000002DE0: 7F000280
	v_mov_b32_e32 v208, 0                                      // 000000002DE4: 7FA00280
	v_mov_b32_e32 v129, 0                                      // 000000002DE8: 7F020280
	v_mov_b32_e32 v209, 0                                      // 000000002DEC: 7FA20280
	v_mov_b32_e32 v130, 0                                      // 000000002DF0: 7F040280
	v_mov_b32_e32 v210, 0                                      // 000000002DF4: 7FA40280
	v_mov_b32_e32 v131, 0                                      // 000000002DF8: 7F060280
	v_mov_b32_e32 v211, 0                                      // 000000002DFC: 7FA60280
	v_mov_b32_e32 v132, 0                                      // 000000002E00: 7F080280
	v_mov_b32_e32 v212, 0                                      // 000000002E04: 7FA80280
	v_mov_b32_e32 v133, 0                                      // 000000002E08: 7F0A0280
	v_mov_b32_e32 v213, 0                                      // 000000002E0C: 7FAA0280
	v_mov_b32_e32 v134, 0                                      // 000000002E10: 7F0C0280
	v_mov_b32_e32 v214, 0                                      // 000000002E14: 7FAC0280
	v_mov_b32_e32 v135, 0                                      // 000000002E18: 7F0E0280
	v_mov_b32_e32 v215, 0                                      // 000000002E1C: 7FAE0280
	v_mov_b32_e32 v136, 0                                      // 000000002E20: 7F100280
	v_mov_b32_e32 v216, 0                                      // 000000002E24: 7FB00280
	v_mov_b32_e32 v137, 0                                      // 000000002E28: 7F120280
	v_mov_b32_e32 v217, 0                                      // 000000002E2C: 7FB20280
	v_mov_b32_e32 v138, 0                                      // 000000002E30: 7F140280
	v_mov_b32_e32 v218, 0                                      // 000000002E34: 7FB40280
	v_mov_b32_e32 v139, 0                                      // 000000002E38: 7F160280
	v_mov_b32_e32 v219, 0                                      // 000000002E3C: 7FB60280
	v_mov_b32_e32 v140, 0                                      // 000000002E40: 7F180280
	v_mov_b32_e32 v220, 0                                      // 000000002E44: 7FB80280
	v_mov_b32_e32 v141, 0                                      // 000000002E48: 7F1A0280
	v_mov_b32_e32 v221, 0                                      // 000000002E4C: 7FBA0280
	v_mov_b32_e32 v142, 0                                      // 000000002E50: 7F1C0280
	v_mov_b32_e32 v222, 0                                      // 000000002E54: 7FBC0280
	v_mov_b32_e32 v143, 0                                      // 000000002E58: 7F1E0280
	v_mov_b32_e32 v223, 0                                      // 000000002E5C: 7FBE0280
	v_mov_b32_e32 v144, 0                                      // 000000002E60: 7F200280
	v_mov_b32_e32 v224, 0                                      // 000000002E64: 7FC00280
	v_mov_b32_e32 v145, 0                                      // 000000002E68: 7F220280
	v_mov_b32_e32 v225, 0                                      // 000000002E6C: 7FC20280
	v_mov_b32_e32 v146, 0                                      // 000000002E70: 7F240280
	v_mov_b32_e32 v226, 0                                      // 000000002E74: 7FC40280
	v_mov_b32_e32 v147, 0                                      // 000000002E78: 7F260280
	v_mov_b32_e32 v227, 0                                      // 000000002E7C: 7FC60280
	v_mov_b32_e32 v148, 0                                      // 000000002E80: 7F280280
	v_mov_b32_e32 v228, 0                                      // 000000002E84: 7FC80280
	v_mov_b32_e32 v149, 0                                      // 000000002E88: 7F2A0280
	v_mov_b32_e32 v229, 0                                      // 000000002E8C: 7FCA0280
	v_mov_b32_e32 v150, 0                                      // 000000002E90: 7F2C0280
	v_mov_b32_e32 v230, 0                                      // 000000002E94: 7FCC0280
	v_mov_b32_e32 v151, 0                                      // 000000002E98: 7F2E0280
	v_mov_b32_e32 v231, 0                                      // 000000002E9C: 7FCE0280
	v_mov_b32_e32 v152, 0                                      // 000000002EA0: 7F300280
	v_mov_b32_e32 v232, 0                                      // 000000002EA4: 7FD00280
	v_mov_b32_e32 v153, 0                                      // 000000002EA8: 7F320280
	v_mov_b32_e32 v233, 0                                      // 000000002EAC: 7FD20280
	v_mov_b32_e32 v154, 0                                      // 000000002EB0: 7F340280
	v_mov_b32_e32 v234, 0                                      // 000000002EB4: 7FD40280
	v_mov_b32_e32 v155, 0                                      // 000000002EB8: 7F360280
	v_mov_b32_e32 v235, 0                                      // 000000002EBC: 7FD60280
	v_mov_b32_e32 v156, 0                                      // 000000002EC0: 7F380280
	v_mov_b32_e32 v236, 0                                      // 000000002EC4: 7FD80280
	v_mov_b32_e32 v157, 0                                      // 000000002EC8: 7F3A0280
	v_mov_b32_e32 v237, 0                                      // 000000002ECC: 7FDA0280
	v_mov_b32_e32 v158, 0                                      // 000000002ED0: 7F3C0280
	v_mov_b32_e32 v238, 0                                      // 000000002ED4: 7FDC0280
	v_mov_b32_e32 v159, 0                                      // 000000002ED8: 7F3E0280
	v_mov_b32_e32 v239, 0                                      // 000000002EDC: 7FDE0280
	v_mov_b32_e32 v160, 0                                      // 000000002EE0: 7F400280
	v_mov_b32_e32 v240, 0                                      // 000000002EE4: 7FE00280
	v_mov_b32_e32 v161, 0                                      // 000000002EE8: 7F420280
	v_mov_b32_e32 v241, 0                                      // 000000002EEC: 7FE20280
	v_mov_b32_e32 v162, 0                                      // 000000002EF0: 7F440280
	v_mov_b32_e32 v242, 0                                      // 000000002EF4: 7FE40280
	v_mov_b32_e32 v163, 0                                      // 000000002EF8: 7F460280
	v_mov_b32_e32 v243, 0                                      // 000000002EFC: 7FE60280
	v_mov_b32_e32 v164, 0                                      // 000000002F00: 7F480280
	v_mov_b32_e32 v244, 0                                      // 000000002F04: 7FE80280
	v_mov_b32_e32 v165, 0                                      // 000000002F08: 7F4A0280
	v_mov_b32_e32 v245, 0                                      // 000000002F0C: 7FEA0280
	v_mov_b32_e32 v166, 0                                      // 000000002F10: 7F4C0280
	v_mov_b32_e32 v246, 0                                      // 000000002F14: 7FEC0280
	v_mov_b32_e32 v167, 0                                      // 000000002F18: 7F4E0280
	v_mov_b32_e32 v247, 0                                      // 000000002F1C: 7FEE0280
	v_mov_b32_e32 v168, 0                                      // 000000002F20: 7F500280
	v_mov_b32_e32 v248, 0                                      // 000000002F24: 7FF00280
	v_mov_b32_e32 v169, 0                                      // 000000002F28: 7F520280
	v_mov_b32_e32 v249, 0                                      // 000000002F2C: 7FF20280
	v_mov_b32_e32 v170, 0                                      // 000000002F30: 7F540280
	v_mov_b32_e32 v250, 0                                      // 000000002F34: 7FF40280
	v_mov_b32_e32 v171, 0                                      // 000000002F38: 7F560280
	v_mov_b32_e32 v251, 0                                      // 000000002F3C: 7FF60280
	s_mul_i32 s60, s2, 0x100                                   // 000000002F40: 923CFF02 00000100
	s_cmp_eq_u32 s88, 0                                        // 000000002F48: BF068058
	s_cselect_b32 s61, 1, 2                                    // 000000002F4C: 853D8281
	s_mul_i32 s60, s60, s61                                    // 000000002F50: 923C3D3C
	s_mov_b32 s90, s8                                          // 000000002F54: BEDA0008
	s_mov_b32 s91, s9                                          // 000000002F58: BEDB0009
	s_add_u32 s8, s60, s8                                      // 000000002F5C: 8008083C
	s_addc_u32 s9, 0, s9                                       // 000000002F60: 82090980
	v_lshrrev_b32_e32 v4, 4, v0                                // 000000002F64: 20080084
	v_mul_lo_u32 v20, 34, v4                                   // 000000002F68: D2850014 000208A2
	v_and_b32_e32 v4, 15, v0                                   // 000000002F70: 2608008F
	v_mul_lo_u32 v5, 2, v4                                     // 000000002F74: D2850005 00020882
	v_add_u32_e32 v20, v5, v20                                 // 000000002F7C: 68282905
	s_mul_i32 s60, s7, 0x88                                    // 000000002F80: 923CFF07 00000088
	v_add_u32_e32 v20, s60, v20                                // 000000002F88: 6828283C
	v_lshlrev_b32_e32 v20, 2, v20                              // 000000002F8C: 24282882
	v_and_b32_e32 v4, 31, v0                                   // 000000002F90: 2608009F
	v_lshrrev_b32_e32 v4, 1, v4                                // 000000002F94: 20080881
	v_mul_lo_u32 v21, 34, v4                                   // 000000002F98: D2850015 000208A2
	v_lshrrev_b32_e32 v4, 5, v0                                // 000000002FA0: 20080085
	v_mul_lo_u32 v4, 8, v4                                     // 000000002FA4: D2850004 00020888
	v_add_u32_e32 v21, v21, v4                                 // 000000002FAC: 682A0915
	v_and_b32_e32 v5, 1, v0                                    // 000000002FB0: 260A0081
	v_add_u32_e32 v21, v5, v21                                 // 000000002FB4: 682A2B05
	s_mul_i32 s60, s7, 2                                       // 000000002FB8: 923C8207
	v_add_u32_e32 v21, s60, v21                                // 000000002FBC: 682A2A3C
	v_lshlrev_b32_e32 v21, 2, v21                              // 000000002FC0: 242A2A82
	s_mul_i32 s60, s7, 0x1420                                  // 000000002FC4: 923CFF07 00001420
	s_add_u32 s48, 0, s60                                      // 000000002FCC: 80303C80
	s_add_u32 s49, 0x5080, s48                                 // 000000002FD0: 803130FF 00005080
	s_add_u32 s50, 0x5080, s49                                 // 000000002FD8: 803231FF 00005080
	v_lshrrev_b32_e32 v4, 4, v0                                // 000000002FE0: 20080084
	v_lshlrev_b32_e32 v5, 2, v4                                // 000000002FE4: 240A0882
	v_and_b32_e32 v4, 15, v0                                   // 000000002FE8: 2608008F
	v_lshrrev_b32_e32 v6, 2, v4                                // 000000002FEC: 200C0882
	v_lshlrev_b32_e32 v6, 5, v6                                // 000000002FF0: 240C0C85
	v_add_u32_e32 v5, v6, v5                                   // 000000002FF4: 680A0B06
	v_and_b32_e32 v4, 3, v0                                    // 000000002FF8: 26080083
	v_mul_u32_u24_e32 v6, 0x508, v4                            // 000000002FFC: 100C08FF 00000508
	v_add_u32_e32 v5, v6, v5                                   // 000000003004: 680A0B06
	v_lshlrev_b32_e32 v2, 2, v5                                // 000000003008: 24040A82
	s_waitcnt lgkmcnt(0)                                       // 00000000300C: BF8CC07F
	s_mul_i32 s60, s2, 0x80                                    // 000000003010: 923CFF02 00000080
	s_mul_i32 s60, s60, s69                                    // 000000003018: 923C453C
	s_mul_i32 s61, s5, s72                                     // 00000000301C: 923D4805
	s_add_u32 s60, s61, s60                                    // 000000003020: 803C3C3D
	s_add_u32 s24, s60, s24                                    // 000000003024: 8018183C
	s_addc_u32 s25, 0, s25                                     // 000000003028: 82191980
	s_lshr_b32 s60, s64, s88                                   // 00000000302C: 8F3C5840
	s_mul_i32 s60, s4, s60                                     // 000000003030: 923C3C04
	s_lshr_b32 s60, s60, 7                                     // 000000003034: 8F3C873C
	s_mul_i32 s60, s60, 0x800                                  // 000000003038: 923CFF3C 00000800
	s_add_u32 s24, s60, s24                                    // 000000003040: 8018183C
	s_addc_u32 s25, 0, s25                                     // 000000003044: 82191980
	s_lshr_b32 s60, s69, s88                                   // 000000003048: 8F3C5845
	s_mul_i32 s60, s4, s60                                     // 00000000304C: 923C3C04
	s_add_u32 s20, s60, s20                                    // 000000003050: 8014143C
	s_addc_u32 s21, 0, s21                                     // 000000003054: 82151580
	s_mul_i32 s60, s7, 16                                      // 000000003058: 923C9007
	s_mul_i32 s60, s60, s69                                    // 00000000305C: 923C453C
	v_lshlrev_b32_e32 v90, 4, v0                               // 000000003060: 24B40084
	v_add_u32_e32 v90, s60, v90                                // 000000003064: 68B4B43C
	s_mul_i32 s60, 64, s69                                     // 000000003068: 923C45C0
	v_add_u32_e32 v91, s60, v90                                // 00000000306C: 68B6B43C
	s_mov_b32 s84, s24                                         // 000000003070: BED40018
	s_mov_b32 s85, s25                                         // 000000003074: BED50019
	s_mov_b32 s86, s26                                         // 000000003078: BED6001A
	s_mov_b32 s87, s27                                         // 00000000307C: BED7001B
	s_mul_i32 s60, s69, s65                                    // 000000003080: 923C4145
	s_add_u32 s84, s60, s84                                    // 000000003084: 8054543C
	s_addc_u32 s85, 0, s85                                     // 000000003088: 82555580
	v_lshrrev_b32_e32 v4, 4, v0                                // 00000000308C: 20080084
	v_lshlrev_b32_e32 v5, 2, v4                                // 000000003090: 240A0882
	v_and_b32_e32 v4, 15, v0                                   // 000000003094: 2608008F
	v_lshrrev_b32_e32 v6, 2, v4                                // 000000003098: 200C0882
	v_lshlrev_b32_e32 v6, 6, v6                                // 00000000309C: 240C0C86
	v_add_u32_e32 v5, v6, v5                                   // 0000000030A0: 680A0B06
	v_and_b32_e32 v4, 3, v0                                    // 0000000030A4: 26080083
	v_add_u32_e32 v5, v4, v5                                   // 0000000030A8: 680A0B04
	v_lshlrev_b32_e32 v22, 2, v5                               // 0000000030AC: 242C0A82
	s_mul_i32 s60, s7, 16                                      // 0000000030B0: 923C9007
	s_mul_i32 s60, s60, 4                                      // 0000000030B4: 923C843C
	v_add_u32_e32 v22, s60, v22                                // 0000000030B8: 682C2C3C
	s_mul_i32 s60, s2, 0x80                                    // 0000000030BC: 923CFF02 00000080
	s_mul_i32 s60, s60, 4                                      // 0000000030C4: 923C843C
	s_mul_i32 s61, s5, s74                                     // 0000000030C8: 923D4A05
	s_add_u32 s61, s61, s60                                    // 0000000030CC: 803D3C3D
	s_add_u32 s32, s61, s32                                    // 0000000030D0: 8020203D
	s_addc_u32 s33, 0, s33                                     // 0000000030D4: 82212180
	s_mov_b32 s57, 0x80                                        // 0000000030D8: BEB900FF 00000080
	s_mov_b32 s58, 0x800                                       // 0000000030E0: BEBA00FF 00000800
	s_mov_b32 s83, s58                                         // 0000000030E8: BED3003A
	s_mov_b32 s52, 0x7060302                                   // 0000000030EC: BEB400FF 07060302
	s_mov_b32 s53, 0x400                                       // 0000000030F4: BEB500FF 00000400
	s_mov_b32 s54, 0x40100                                     // 0000000030FC: BEB600FF 00040100
	s_mov_b32 s55, 0x4020100                                   // 000000003104: BEB700FF 04020100
	s_mov_b32 s6, 0x3fb8aa3b                                   // 00000000310C: BE8600FF 3FB8AA3B
	s_mov_b32 s78, 0xbd92220c                                  // 000000003114: BECE00FF BD92220C
	s_mov_b32 s79, 0xbd92220c                                  // 00000000311C: BECF00FF BD92220C
	s_mov_b32 m0, s48                                          // 000000003124: BEFC0030
	v_mov_b32_e32 v1, 0xbfcc4231                               // 000000003128: 7E0202FF BFCC4231
	v_mov_b32_e32 v17, 0xffff0000                              // 000000003130: 7E2202FF FFFF0000
	v_mov_b32_e32 v18, 0x7fff0000                              // 000000003138: 7E2402FF 7FFF0000
	v_mov_b32_e32 v19, 0x7fff                                  // 000000003140: 7E2602FF 00007FFF
	s_waitcnt vmcnt(0) expcnt(0) lgkmcnt(0)                    // 000000003148: BF8C0000
	v_lshrrev_b32_e32 v4, 5, v0                                // 00000000314C: 20080085
	v_xor_b32_e32 v5, 1, v4                                    // 000000003150: 2A0A0881
	v_readlane_b32 s82, v3, 0                                  // 000000003154: D2890052 00010103
	s_and_b32 s82, s82, 0xffffff                               // 00000000315C: 8652FF52 00FFFFFF
	v_mul_lo_u32 v6, v5, s82                                   // 000000003164: D2850006 0000A505
	v_readlane_b32 s82, v3, 1                                  // 00000000316C: D2890052 00010303
	s_and_b32 s82, s82, 0xffffff                               // 000000003174: 8652FF52 00FFFFFF
	v_mul_lo_u32 v7, v4, s82                                   // 00000000317C: D2850007 0000A504
	v_add_u32_e32 v70, v6, v7                                  // 000000003184: 688C0F06
	v_mul_lo_u32 v70, v70, s68                                 // 000000003188: D2850046 00008946
	v_readlane_b32 s82, v3, 2                                  // 000000003190: D2890052 00010503
	s_and_b32 s82, s82, 0xffffff                               // 000000003198: 8652FF52 00FFFFFF
	v_mul_lo_u32 v6, v5, s82                                   // 0000000031A0: D2850006 0000A505
	v_readlane_b32 s82, v3, 3                                  // 0000000031A8: D2890052 00010703
	s_and_b32 s82, s82, 0xffffff                               // 0000000031B0: 8652FF52 00FFFFFF
	v_mul_lo_u32 v7, v4, s82                                   // 0000000031B8: D2850007 0000A504
	v_add_u32_e32 v71, v6, v7                                  // 0000000031C0: 688E0F06
	v_mul_lo_u32 v71, v71, s68                                 // 0000000031C4: D2850047 00008947
	v_readlane_b32 s82, v3, 4                                  // 0000000031CC: D2890052 00010903
	s_and_b32 s82, s82, 0xffffff                               // 0000000031D4: 8652FF52 00FFFFFF
	v_mul_lo_u32 v6, v5, s82                                   // 0000000031DC: D2850006 0000A505
	v_readlane_b32 s82, v3, 5                                  // 0000000031E4: D2890052 00010B03
	s_and_b32 s82, s82, 0xffffff                               // 0000000031EC: 8652FF52 00FFFFFF
	v_mul_lo_u32 v7, v4, s82                                   // 0000000031F4: D2850007 0000A504
	v_add_u32_e32 v72, v6, v7                                  // 0000000031FC: 68900F06
	v_mul_lo_u32 v72, v72, s68                                 // 000000003200: D2850048 00008948
	v_readlane_b32 s82, v3, 6                                  // 000000003208: D2890052 00010D03
	s_and_b32 s82, s82, 0xffffff                               // 000000003210: 8652FF52 00FFFFFF
	v_mul_lo_u32 v6, v5, s82                                   // 000000003218: D2850006 0000A505
	v_readlane_b32 s82, v3, 7                                  // 000000003220: D2890052 00010F03
	s_and_b32 s82, s82, 0xffffff                               // 000000003228: 8652FF52 00FFFFFF
	v_mul_lo_u32 v7, v4, s82                                   // 000000003230: D2850007 0000A504
	v_add_u32_e32 v73, v6, v7                                  // 000000003238: 68920F06
	v_mul_lo_u32 v73, v73, s68                                 // 00000000323C: D2850049 00008949
	v_readlane_b32 s82, v3, 8                                  // 000000003244: D2890052 00011103
	s_and_b32 s82, s82, 0xffffff                               // 00000000324C: 8652FF52 00FFFFFF
	v_mul_lo_u32 v6, v5, s82                                   // 000000003254: D2850006 0000A505
	v_readlane_b32 s82, v3, 9                                  // 00000000325C: D2890052 00011303
	s_and_b32 s82, s82, 0xffffff                               // 000000003264: 8652FF52 00FFFFFF
	v_mul_lo_u32 v7, v4, s82                                   // 00000000326C: D2850007 0000A504
	v_add_u32_e32 v74, v6, v7                                  // 000000003274: 68940F06
	v_mul_lo_u32 v74, v74, s68                                 // 000000003278: D285004A 0000894A
	v_readlane_b32 s82, v3, 10                                 // 000000003280: D2890052 00011503
	s_and_b32 s82, s82, 0xffffff                               // 000000003288: 8652FF52 00FFFFFF
	v_mul_lo_u32 v6, v5, s82                                   // 000000003290: D2850006 0000A505
	v_readlane_b32 s82, v3, 11                                 // 000000003298: D2890052 00011703
	s_and_b32 s82, s82, 0xffffff                               // 0000000032A0: 8652FF52 00FFFFFF
	v_mul_lo_u32 v7, v4, s82                                   // 0000000032A8: D2850007 0000A504
	v_add_u32_e32 v75, v6, v7                                  // 0000000032B0: 68960F06
	v_mul_lo_u32 v75, v75, s68                                 // 0000000032B4: D285004B 0000894B
	v_readlane_b32 s82, v3, 12                                 // 0000000032BC: D2890052 00011903
	s_and_b32 s82, s82, 0xffffff                               // 0000000032C4: 8652FF52 00FFFFFF
	v_mul_lo_u32 v6, v5, s82                                   // 0000000032CC: D2850006 0000A505
	v_readlane_b32 s82, v3, 13                                 // 0000000032D4: D2890052 00011B03
	s_and_b32 s82, s82, 0xffffff                               // 0000000032DC: 8652FF52 00FFFFFF
	v_mul_lo_u32 v7, v4, s82                                   // 0000000032E4: D2850007 0000A504
	v_add_u32_e32 v76, v6, v7                                  // 0000000032EC: 68980F06
	v_mul_lo_u32 v76, v76, s68                                 // 0000000032F0: D285004C 0000894C
	v_readlane_b32 s82, v3, 14                                 // 0000000032F8: D2890052 00011D03
	s_and_b32 s82, s82, 0xffffff                               // 000000003300: 8652FF52 00FFFFFF
	v_mul_lo_u32 v6, v5, s82                                   // 000000003308: D2850006 0000A505
	v_readlane_b32 s82, v3, 15                                 // 000000003310: D2890052 00011F03
	s_and_b32 s82, s82, 0xffffff                               // 000000003318: 8652FF52 00FFFFFF
	v_mul_lo_u32 v7, v4, s82                                   // 000000003320: D2850007 0000A504
	v_add_u32_e32 v77, v6, v7                                  // 000000003328: 689A0F06
	v_mul_lo_u32 v77, v77, s68                                 // 00000000332C: D285004D 0000894D
	v_readlane_b32 s82, v3, 16                                 // 000000003334: D2890052 00012103
	s_and_b32 s82, s82, 0xffffff                               // 00000000333C: 8652FF52 00FFFFFF
	v_mul_lo_u32 v6, v5, s82                                   // 000000003344: D2850006 0000A505
	v_readlane_b32 s82, v3, 17                                 // 00000000334C: D2890052 00012303
	s_and_b32 s82, s82, 0xffffff                               // 000000003354: 8652FF52 00FFFFFF
	v_mul_lo_u32 v7, v4, s82                                   // 00000000335C: D2850007 0000A504
	v_add_u32_e32 v78, v6, v7                                  // 000000003364: 689C0F06
	v_mul_lo_u32 v78, v78, s68                                 // 000000003368: D285004E 0000894E
	v_readlane_b32 s82, v3, 18                                 // 000000003370: D2890052 00012503
	s_and_b32 s82, s82, 0xffffff                               // 000000003378: 8652FF52 00FFFFFF
	v_mul_lo_u32 v6, v5, s82                                   // 000000003380: D2850006 0000A505
	v_readlane_b32 s82, v3, 19                                 // 000000003388: D2890052 00012703
	s_and_b32 s82, s82, 0xffffff                               // 000000003390: 8652FF52 00FFFFFF
	v_mul_lo_u32 v7, v4, s82                                   // 000000003398: D2850007 0000A504
	v_add_u32_e32 v79, v6, v7                                  // 0000000033A0: 689E0F06
	v_mul_lo_u32 v79, v79, s68                                 // 0000000033A4: D285004F 0000894F
	v_readlane_b32 s82, v3, 20                                 // 0000000033AC: D2890052 00012903
	s_and_b32 s82, s82, 0xffffff                               // 0000000033B4: 8652FF52 00FFFFFF
	v_mul_lo_u32 v6, v5, s82                                   // 0000000033BC: D2850006 0000A505
	v_readlane_b32 s82, v3, 21                                 // 0000000033C4: D2890052 00012B03
	s_and_b32 s82, s82, 0xffffff                               // 0000000033CC: 8652FF52 00FFFFFF
	v_mul_lo_u32 v7, v4, s82                                   // 0000000033D4: D2850007 0000A504
	v_add_u32_e32 v80, v6, v7                                  // 0000000033DC: 68A00F06
	v_mul_lo_u32 v80, v80, s68                                 // 0000000033E0: D2850050 00008950
	v_readlane_b32 s82, v3, 22                                 // 0000000033E8: D2890052 00012D03
	s_and_b32 s82, s82, 0xffffff                               // 0000000033F0: 8652FF52 00FFFFFF
	v_mul_lo_u32 v6, v5, s82                                   // 0000000033F8: D2850006 0000A505
	v_readlane_b32 s82, v3, 23                                 // 000000003400: D2890052 00012F03
	s_and_b32 s82, s82, 0xffffff                               // 000000003408: 8652FF52 00FFFFFF
	v_mul_lo_u32 v7, v4, s82                                   // 000000003410: D2850007 0000A504
	v_add_u32_e32 v81, v6, v7                                  // 000000003418: 68A20F06
	v_mul_lo_u32 v81, v81, s68                                 // 00000000341C: D2850051 00008951
	v_readlane_b32 s82, v3, 24                                 // 000000003424: D2890052 00013103
	s_and_b32 s82, s82, 0xffffff                               // 00000000342C: 8652FF52 00FFFFFF
	v_mul_lo_u32 v6, v5, s82                                   // 000000003434: D2850006 0000A505
	v_readlane_b32 s82, v3, 25                                 // 00000000343C: D2890052 00013303
	s_and_b32 s82, s82, 0xffffff                               // 000000003444: 8652FF52 00FFFFFF
	v_mul_lo_u32 v7, v4, s82                                   // 00000000344C: D2850007 0000A504
	v_add_u32_e32 v82, v6, v7                                  // 000000003454: 68A40F06
	v_mul_lo_u32 v82, v82, s68                                 // 000000003458: D2850052 00008952
	v_readlane_b32 s82, v3, 26                                 // 000000003460: D2890052 00013503
	s_and_b32 s82, s82, 0xffffff                               // 000000003468: 8652FF52 00FFFFFF
	v_mul_lo_u32 v6, v5, s82                                   // 000000003470: D2850006 0000A505
	v_readlane_b32 s82, v3, 27                                 // 000000003478: D2890052 00013703
	s_and_b32 s82, s82, 0xffffff                               // 000000003480: 8652FF52 00FFFFFF
	v_mul_lo_u32 v7, v4, s82                                   // 000000003488: D2850007 0000A504
	v_add_u32_e32 v83, v6, v7                                  // 000000003490: 68A60F06
	v_mul_lo_u32 v83, v83, s68                                 // 000000003494: D2850053 00008953
	v_readlane_b32 s82, v3, 28                                 // 00000000349C: D2890052 00013903
	s_and_b32 s82, s82, 0xffffff                               // 0000000034A4: 8652FF52 00FFFFFF
	v_mul_lo_u32 v6, v5, s82                                   // 0000000034AC: D2850006 0000A505
	v_readlane_b32 s82, v3, 29                                 // 0000000034B4: D2890052 00013B03
	s_and_b32 s82, s82, 0xffffff                               // 0000000034BC: 8652FF52 00FFFFFF
	v_mul_lo_u32 v7, v4, s82                                   // 0000000034C4: D2850007 0000A504
	v_add_u32_e32 v84, v6, v7                                  // 0000000034CC: 68A80F06
	v_mul_lo_u32 v84, v84, s68                                 // 0000000034D0: D2850054 00008954
	v_readlane_b32 s82, v3, 30                                 // 0000000034D8: D2890052 00013D03
	s_and_b32 s82, s82, 0xffffff                               // 0000000034E0: 8652FF52 00FFFFFF
	v_mul_lo_u32 v6, v5, s82                                   // 0000000034E8: D2850006 0000A505
	v_readlane_b32 s82, v3, 31                                 // 0000000034F0: D2890052 00013F03
	s_and_b32 s82, s82, 0xffffff                               // 0000000034F8: 8652FF52 00FFFFFF
	v_mul_lo_u32 v7, v4, s82                                   // 000000003500: D2850007 0000A504
	v_add_u32_e32 v85, v6, v7                                  // 000000003508: 68AA0F06
	v_mul_lo_u32 v85, v85, s68                                 // 00000000350C: D2850055 00008955
	v_readlane_b32 s82, v3, 32                                 // 000000003514: D2890052 00014103
	s_and_b32 s82, s82, 0xffffff                               // 00000000351C: 8652FF52 00FFFFFF
	v_mul_lo_u32 v6, v5, s82                                   // 000000003524: D2850006 0000A505
	v_readlane_b32 s82, v3, 33                                 // 00000000352C: D2890052 00014303
	s_and_b32 s82, s82, 0xffffff                               // 000000003534: 8652FF52 00FFFFFF
	v_mul_lo_u32 v7, v4, s82                                   // 00000000353C: D2850007 0000A504
	v_add_u32_e32 v86, v6, v7                                  // 000000003544: 68AC0F06
	v_mul_lo_u32 v86, v86, s68                                 // 000000003548: D2850056 00008956
	v_readlane_b32 s82, v3, 34                                 // 000000003550: D2890052 00014503
	s_and_b32 s82, s82, 0xffffff                               // 000000003558: 8652FF52 00FFFFFF
	v_mul_lo_u32 v6, v5, s82                                   // 000000003560: D2850006 0000A505
	v_readlane_b32 s82, v3, 35                                 // 000000003568: D2890052 00014703
	s_and_b32 s82, s82, 0xffffff                               // 000000003570: 8652FF52 00FFFFFF
	v_mul_lo_u32 v7, v4, s82                                   // 000000003578: D2850007 0000A504
	v_add_u32_e32 v87, v6, v7                                  // 000000003580: 68AE0F06
	v_mul_lo_u32 v87, v87, s68                                 // 000000003584: D2850057 00008957
	v_readlane_b32 s82, v3, 36                                 // 00000000358C: D2890052 00014903
	s_and_b32 s82, s82, 0xffffff                               // 000000003594: 8652FF52 00FFFFFF
	v_mul_lo_u32 v6, v5, s82                                   // 00000000359C: D2850006 0000A505
	v_readlane_b32 s82, v3, 37                                 // 0000000035A4: D2890052 00014B03
	s_and_b32 s82, s82, 0xffffff                               // 0000000035AC: 8652FF52 00FFFFFF
	v_mul_lo_u32 v7, v4, s82                                   // 0000000035B4: D2850007 0000A504
	v_add_u32_e32 v88, v6, v7                                  // 0000000035BC: 68B00F06
	v_mul_lo_u32 v88, v88, s68                                 // 0000000035C0: D2850058 00008958
	v_readlane_b32 s82, v3, 38                                 // 0000000035C8: D2890052 00014D03
	s_and_b32 s82, s82, 0xffffff                               // 0000000035D0: 8652FF52 00FFFFFF
	v_mul_lo_u32 v6, v5, s82                                   // 0000000035D8: D2850006 0000A505
	v_readlane_b32 s82, v3, 39                                 // 0000000035E0: D2890052 00014F03
	s_and_b32 s82, s82, 0xffffff                               // 0000000035E8: 8652FF52 00FFFFFF
	v_mul_lo_u32 v7, v4, s82                                   // 0000000035F0: D2850007 0000A504
	v_add_u32_e32 v89, v6, v7                                  // 0000000035F8: 68B20F06
	v_mul_lo_u32 v89, v89, s68                                 // 0000000035FC: D2850059 00008959
	v_and_b32_e32 v4, 31, v0                                   // 000000003604: 2608009F
	v_lshlrev_b32_e32 v4, 2, v4                                // 000000003608: 24080882
	v_add_u32_e32 v70, v70, v4                                 // 00000000360C: 688C0946
	v_add_u32_e32 v71, v71, v4                                 // 000000003610: 688E0947
	v_add_u32_e32 v72, v72, v4                                 // 000000003614: 68900948
	v_add_u32_e32 v73, v73, v4                                 // 000000003618: 68920949
	v_add_u32_e32 v74, v74, v4                                 // 00000000361C: 6894094A
	v_add_u32_e32 v75, v75, v4                                 // 000000003620: 6896094B
	v_add_u32_e32 v76, v76, v4                                 // 000000003624: 6898094C
	v_add_u32_e32 v77, v77, v4                                 // 000000003628: 689A094D
	v_add_u32_e32 v78, v78, v4                                 // 00000000362C: 689C094E
	v_add_u32_e32 v79, v79, v4                                 // 000000003630: 689E094F
	v_add_u32_e32 v80, v80, v4                                 // 000000003634: 68A00950
	v_add_u32_e32 v81, v81, v4                                 // 000000003638: 68A20951
	v_add_u32_e32 v82, v82, v4                                 // 00000000363C: 68A40952
	v_add_u32_e32 v83, v83, v4                                 // 000000003640: 68A60953
	v_add_u32_e32 v84, v84, v4                                 // 000000003644: 68A80954
	v_add_u32_e32 v85, v85, v4                                 // 000000003648: 68AA0955
	v_add_u32_e32 v86, v86, v4                                 // 00000000364C: 68AC0956
	v_add_u32_e32 v87, v87, v4                                 // 000000003650: 68AE0957
	v_add_u32_e32 v88, v88, v4                                 // 000000003654: 68B00958
	v_add_u32_e32 v89, v89, v4                                 // 000000003658: 68B20959
	v_and_b32_e32 v30, 0xffffff, v30                           // 00000000365C: 263C3CFF 00FFFFFF
	v_lshlrev_b32_e32 v30, 2, v30                              // 000000003664: 243C3C82
	v_and_b32_e32 v31, 0xffffff, v31                           // 000000003668: 263E3EFF 00FFFFFF
	v_lshlrev_b32_e32 v31, 2, v31                              // 000000003670: 243E3E82
	v_and_b32_e32 v32, 0xffffff, v32                           // 000000003674: 264040FF 00FFFFFF
	v_lshlrev_b32_e32 v32, 2, v32                              // 00000000367C: 24404082
	v_and_b32_e32 v33, 0xffffff, v33                           // 000000003680: 264242FF 00FFFFFF
	v_lshlrev_b32_e32 v33, 2, v33                              // 000000003688: 24424282
	v_and_b32_e32 v34, 0xffffff, v34                           // 00000000368C: 264444FF 00FFFFFF
	v_lshlrev_b32_e32 v34, 2, v34                              // 000000003694: 24444482
	v_and_b32_e32 v35, 0xffffff, v35                           // 000000003698: 264646FF 00FFFFFF
	v_lshlrev_b32_e32 v35, 2, v35                              // 0000000036A0: 24464682
	v_and_b32_e32 v36, 0xffffff, v36                           // 0000000036A4: 264848FF 00FFFFFF
	v_lshlrev_b32_e32 v36, 2, v36                              // 0000000036AC: 24484882
	v_and_b32_e32 v37, 0xffffff, v37                           // 0000000036B0: 264A4AFF 00FFFFFF
	v_lshlrev_b32_e32 v37, 2, v37                              // 0000000036B8: 244A4A82
	v_and_b32_e32 v38, 0xffffff, v38                           // 0000000036BC: 264C4CFF 00FFFFFF
	v_lshlrev_b32_e32 v38, 2, v38                              // 0000000036C4: 244C4C82
	v_and_b32_e32 v39, 0xffffff, v39                           // 0000000036C8: 264E4EFF 00FFFFFF
	v_lshlrev_b32_e32 v39, 2, v39                              // 0000000036D0: 244E4E82
	s_lshl_b32 s3, s66, 2                                      // 0000000036D4: 8E038242
	buffer_load_dword v40, v30, s[28:31], 0 offen              // 0000000036D8: E0501000 8007281E
	buffer_load_dword v41, v31, s[28:31], 0 offen              // 0000000036E0: E0501000 8007291F
	buffer_load_dword v42, v32, s[28:31], 0 offen              // 0000000036E8: E0501000 80072A20
	buffer_load_dword v43, v33, s[28:31], 0 offen              // 0000000036F0: E0501000 80072B21
	buffer_load_dword v44, v34, s[28:31], 0 offen              // 0000000036F8: E0501000 80072C22
	buffer_load_dword v45, v35, s[28:31], 0 offen              // 000000003700: E0501000 80072D23
	buffer_load_dword v46, v36, s[28:31], 0 offen              // 000000003708: E0501000 80072E24
	buffer_load_dword v47, v37, s[28:31], 0 offen              // 000000003710: E0501000 80072F25
	buffer_load_dword v48, v38, s[28:31], 0 offen              // 000000003718: E0501000 80073026
	buffer_load_dword v49, v39, s[28:31], 0 offen              // 000000003720: E0501000 80073127
	;; [unrolled: 1-line block ×3, first 2 shown]
	s_mul_i32 s60, 4, s65                                      // 000000003730: 923C4184
	s_add_u32 s32, s60, s32                                    // 000000003734: 8020203C
	s_addc_u32 s33, 0, s33                                     // 000000003738: 82212180
	buffer_load_dword v27, v22, s[32:35], 0 offen              // 00000000373C: E0501000 80081B16
	buffer_load_dword v70, s[20:23], 0 offen lds               // 000000003744: E0511000 80050046
	s_add_u32 m0, 0x100, s48                                   // 00000000374C: 807C30FF 00000100
	buffer_load_dword v71, s[20:23], 0 offen lds               // 000000003754: E0511000 80050047
	s_add_u32 m0, 0x200, s48                                   // 00000000375C: 807C30FF 00000200
	buffer_load_dword v72, s[20:23], 0 offen lds               // 000000003764: E0511000 80050048
	s_add_u32 m0, 0x300, s48                                   // 00000000376C: 807C30FF 00000300
	buffer_load_dword v73, s[20:23], 0 offen lds               // 000000003774: E0511000 80050049
	s_add_u32 m0, 0x400, s48                                   // 00000000377C: 807C30FF 00000400
	buffer_load_dword v74, s[20:23], 0 offen lds               // 000000003784: E0511000 8005004A
	s_add_u32 m0, 0x500, s48                                   // 00000000378C: 807C30FF 00000500
	buffer_load_dword v75, s[20:23], 0 offen lds               // 000000003794: E0511000 8005004B
	s_add_u32 m0, 0x600, s48                                   // 00000000379C: 807C30FF 00000600
	buffer_load_dword v76, s[20:23], 0 offen lds               // 0000000037A4: E0511000 8005004C
	s_add_u32 m0, 0x700, s48                                   // 0000000037AC: 807C30FF 00000700
	buffer_load_dword v77, s[20:23], 0 offen lds               // 0000000037B4: E0511000 8005004D
	s_add_u32 m0, 0x800, s48                                   // 0000000037BC: 807C30FF 00000800
	buffer_load_dword v78, s[20:23], 0 offen lds               // 0000000037C4: E0511000 8005004E
	s_add_u32 m0, 0x900, s48                                   // 0000000037CC: 807C30FF 00000900
	buffer_load_dword v79, s[20:23], 0 offen lds               // 0000000037D4: E0511000 8005004F
	s_add_u32 m0, 0xa00, s48                                   // 0000000037DC: 807C30FF 00000A00
	buffer_load_dword v80, s[20:23], 0 offen lds               // 0000000037E4: E0511000 80050050
	s_add_u32 m0, 0xb00, s48                                   // 0000000037EC: 807C30FF 00000B00
	buffer_load_dword v81, s[20:23], 0 offen lds               // 0000000037F4: E0511000 80050051
	s_add_u32 m0, 0xc00, s48                                   // 0000000037FC: 807C30FF 00000C00
	buffer_load_dword v82, s[20:23], 0 offen lds               // 000000003804: E0511000 80050052
	s_add_u32 m0, 0xd00, s48                                   // 00000000380C: 807C30FF 00000D00
	buffer_load_dword v83, s[20:23], 0 offen lds               // 000000003814: E0511000 80050053
	s_add_u32 m0, 0xe00, s48                                   // 00000000381C: 807C30FF 00000E00
	buffer_load_dword v84, s[20:23], 0 offen lds               // 000000003824: E0511000 80050054
	s_add_u32 m0, 0xf00, s48                                   // 00000000382C: 807C30FF 00000F00
	buffer_load_dword v85, s[20:23], 0 offen lds               // 000000003834: E0511000 80050055
	s_add_u32 m0, 0x1000, s48                                  // 00000000383C: 807C30FF 00001000
	buffer_load_dword v86, s[20:23], 0 offen lds               // 000000003844: E0511000 80050056
	s_add_u32 m0, 0x1100, s48                                  // 00000000384C: 807C30FF 00001100
	buffer_load_dword v87, s[20:23], 0 offen lds               // 000000003854: E0511000 80050057
	s_add_u32 m0, 0x1200, s48                                  // 00000000385C: 807C30FF 00001200
	buffer_load_dword v88, s[20:23], 0 offen lds               // 000000003864: E0511000 80050058
	s_add_u32 m0, 0x1300, s48                                  // 00000000386C: 807C30FF 00001300
	buffer_load_dword v89, s[20:23], 0 offen lds               // 000000003874: E0511000 80050059
	s_add_u32 m0, 0, s49                                       // 00000000387C: 807C3180
	s_add_u32 s20, s57, s20                                    // 000000003880: 80141439
	s_addc_u32 s21, 0, s21                                     // 000000003884: 82151580
	buffer_load_dwordx4 a[160:163], v90, s[24:27], 0 offen     // 000000003888: E05C1000 8086A05A
	buffer_load_dwordx4 a[164:167], v90, s[24:27], 0 offen offset:1024// 000000003890: E05C1400 8086A45A
	buffer_load_dwordx4 a[168:171], v91, s[24:27], 0 offen     // 000000003898: E05C1000 8086A85B
	buffer_load_dwordx4 a[172:175], v91, s[24:27], 0 offen offset:1024// 0000000038A0: E05C1400 8086AC5B
	s_add_u32 s24, s58, s24                                    // 0000000038A8: 8018183A
	s_addc_u32 s25, 0, s25                                     // 0000000038AC: 82191980
	buffer_load_dword v70, s[20:23], 0 offen lds               // 0000000038B0: E0511000 80050046
	s_add_u32 m0, 0x100, s49                                   // 0000000038B8: 807C31FF 00000100
	buffer_load_dword v71, s[20:23], 0 offen lds               // 0000000038C0: E0511000 80050047
	s_add_u32 m0, 0x200, s49                                   // 0000000038C8: 807C31FF 00000200
	buffer_load_dword v72, s[20:23], 0 offen lds               // 0000000038D0: E0511000 80050048
	s_add_u32 m0, 0x300, s49                                   // 0000000038D8: 807C31FF 00000300
	buffer_load_dword v73, s[20:23], 0 offen lds               // 0000000038E0: E0511000 80050049
	s_add_u32 m0, 0x400, s49                                   // 0000000038E8: 807C31FF 00000400
	buffer_load_dword v74, s[20:23], 0 offen lds               // 0000000038F0: E0511000 8005004A
	s_add_u32 m0, 0x500, s49                                   // 0000000038F8: 807C31FF 00000500
	buffer_load_dword v75, s[20:23], 0 offen lds               // 000000003900: E0511000 8005004B
	s_add_u32 m0, 0x600, s49                                   // 000000003908: 807C31FF 00000600
	buffer_load_dword v76, s[20:23], 0 offen lds               // 000000003910: E0511000 8005004C
	s_add_u32 m0, 0x700, s49                                   // 000000003918: 807C31FF 00000700
	buffer_load_dword v77, s[20:23], 0 offen lds               // 000000003920: E0511000 8005004D
	s_add_u32 m0, 0x800, s49                                   // 000000003928: 807C31FF 00000800
	buffer_load_dword v78, s[20:23], 0 offen lds               // 000000003930: E0511000 8005004E
	s_add_u32 m0, 0x900, s49                                   // 000000003938: 807C31FF 00000900
	buffer_load_dword v79, s[20:23], 0 offen lds               // 000000003940: E0511000 8005004F
	s_add_u32 m0, 0xa00, s49                                   // 000000003948: 807C31FF 00000A00
	buffer_load_dword v80, s[20:23], 0 offen lds               // 000000003950: E0511000 80050050
	s_add_u32 m0, 0xb00, s49                                   // 000000003958: 807C31FF 00000B00
	buffer_load_dword v81, s[20:23], 0 offen lds               // 000000003960: E0511000 80050051
	s_add_u32 m0, 0xc00, s49                                   // 000000003968: 807C31FF 00000C00
	buffer_load_dword v82, s[20:23], 0 offen lds               // 000000003970: E0511000 80050052
	s_add_u32 m0, 0xd00, s49                                   // 000000003978: 807C31FF 00000D00
	buffer_load_dword v83, s[20:23], 0 offen lds               // 000000003980: E0511000 80050053
	s_add_u32 m0, 0xe00, s49                                   // 000000003988: 807C31FF 00000E00
	buffer_load_dword v84, s[20:23], 0 offen lds               // 000000003990: E0511000 80050054
	s_add_u32 m0, 0xf00, s49                                   // 000000003998: 807C31FF 00000F00
	buffer_load_dword v85, s[20:23], 0 offen lds               // 0000000039A0: E0511000 80050055
	s_add_u32 m0, 0x1000, s49                                  // 0000000039A8: 807C31FF 00001000
	buffer_load_dword v86, s[20:23], 0 offen lds               // 0000000039B0: E0511000 80050056
	s_add_u32 m0, 0x1100, s49                                  // 0000000039B8: 807C31FF 00001100
	buffer_load_dword v87, s[20:23], 0 offen lds               // 0000000039C0: E0511000 80050057
	s_add_u32 m0, 0x1200, s49                                  // 0000000039C8: 807C31FF 00001200
	buffer_load_dword v88, s[20:23], 0 offen lds               // 0000000039D0: E0511000 80050058
	s_add_u32 m0, 0x1300, s49                                  // 0000000039D8: 807C31FF 00001300
	buffer_load_dword v89, s[20:23], 0 offen lds               // 0000000039E0: E0511000 80050059
	s_add_u32 m0, 0, s50                                       // 0000000039E8: 807C3280
	s_add_u32 s20, s57, s20                                    // 0000000039EC: 80141439
	s_addc_u32 s21, 0, s21                                     // 0000000039F0: 82151580
	buffer_load_dwordx4 a[176:179], v90, s[84:87], 0 offen     // 0000000039F4: E05C1000 8095B05A
	buffer_load_dwordx4 a[180:183], v90, s[84:87], 0 offen offset:1024// 0000000039FC: E05C1400 8095B45A
	buffer_load_dwordx4 a[184:187], v91, s[84:87], 0 offen     // 000000003A04: E05C1000 8095B85B
	buffer_load_dwordx4 a[188:191], v91, s[84:87], 0 offen offset:1024// 000000003A0C: E05C1400 8095BC5B
	s_add_u32 s84, s83, s84                                    // 000000003A14: 80545453
	s_addc_u32 s85, 0, s85                                     // 000000003A18: 82555580
	s_waitcnt vmcnt(28)                                        // 000000003A1C: BF8C4F7C
	s_barrier                                                  // 000000003A20: BF8A0000
	ds_read_b128 a[0:3], v2                                    // 000000003A24: DBFE0000 00000002
	ds_read_b128 a[4:7], v2 offset:64                          // 000000003A2C: DBFE0040 04000002
	ds_read_b128 a[8:11], v2 offset:512                        // 000000003A34: DBFE0200 08000002
	ds_read_b128 a[12:15], v2 offset:576                       // 000000003A3C: DBFE0240 0C000002
	ds_read_b128 a[16:19], v2 offset:1024                      // 000000003A44: DBFE0400 10000002
	ds_read_b128 a[20:23], v2 offset:1088                      // 000000003A4C: DBFE0440 14000002
	ds_read_b128 a[24:27], v2 offset:1536                      // 000000003A54: DBFE0600 18000002
	ds_read_b128 a[28:31], v2 offset:1600                      // 000000003A5C: DBFE0640 1C000002
	ds_read_b128 a[32:35], v2 offset:2048                      // 000000003A64: DBFE0800 20000002
	ds_read_b128 a[36:39], v2 offset:2112                      // 000000003A6C: DBFE0840 24000002
	ds_read_b128 a[40:43], v2 offset:2560                      // 000000003A74: DBFE0A00 28000002
	ds_read_b128 a[44:47], v2 offset:2624                      // 000000003A7C: DBFE0A40 2C000002
	ds_read_b128 a[48:51], v2 offset:3072                      // 000000003A84: DBFE0C00 30000002
	ds_read_b128 a[52:55], v2 offset:3136                      // 000000003A8C: DBFE0C40 34000002
	ds_read_b128 a[56:59], v2 offset:3584                      // 000000003A94: DBFE0E00 38000002
	ds_read_b128 a[60:63], v2 offset:3648                      // 000000003A9C: DBFE0E40 3C000002
	ds_read_b128 a[64:67], v2 offset:4096                      // 000000003AA4: DBFE1000 40000002
	ds_read_b128 a[68:71], v2 offset:4160                      // 000000003AAC: DBFE1040 44000002
	ds_read_b128 a[72:75], v2 offset:4608                      // 000000003AB4: DBFE1200 48000002
	ds_read_b128 a[76:79], v2 offset:4672                      // 000000003ABC: DBFE1240 4C000002
	s_cmp_lt_i32 s7, 2                                         // 000000003AC4: BF048207
	s_cbranch_scc0 label_271A                                  // 000000003AC8: BF8422E4

0000000000003acc <label_0433>:
	s_waitcnt vmcnt(24) lgkmcnt(0)                             // 000000003ACC: BF8C4078
	v_mfma_f32_16x16x32_fp8_fp8 v[92:95], a[160:161], a[0:1], v[92:95]// 000000003AD0: D3F3005C 1D7201A0
	v_mfma_f32_16x16x32_fp8_fp8 v[92:95], a[162:163], a[2:3], v[92:95]// 000000003AD8: D3F3005C 1D7205A2
	buffer_load_dwordx4 a[192:195], v90, s[24:27], 0 offen     // 000000003AE0: E05C1000 8086C05A
	v_mfma_f32_16x16x32_fp8_fp8 v[92:95], a[164:165], a[4:5], v[92:95]// 000000003AE8: D3F3005C 1D7209A4
	v_mfma_f32_16x16x32_fp8_fp8 v[92:95], a[166:167], a[6:7], v[92:95]// 000000003AF0: D3F3005C 1D720DA6
	v_mfma_f32_16x16x32_fp8_fp8 v[132:135], a[168:169], a[0:1], v[132:135]// 000000003AF8: D3F30084 1E1201A8
	v_mfma_f32_16x16x32_fp8_fp8 v[132:135], a[170:171], a[2:3], v[132:135]// 000000003B00: D3F30084 1E1205AA
	buffer_load_dwordx4 a[196:199], v90, s[24:27], 0 offen offset:1024// 000000003B08: E05C1400 8086C45A
	v_mfma_f32_16x16x32_fp8_fp8 v[132:135], a[172:173], a[4:5], v[132:135]// 000000003B10: D3F30084 1E1209AC
	v_mfma_f32_16x16x32_fp8_fp8 v[132:135], a[174:175], a[6:7], v[132:135]// 000000003B18: D3F30084 1E120DAE
	v_mfma_f32_16x16x32_fp8_fp8 v[96:99], a[160:161], a[8:9], v[96:99]// 000000003B20: D3F30060 1D8211A0
	v_mfma_f32_16x16x32_fp8_fp8 v[96:99], a[162:163], a[10:11], v[96:99]// 000000003B28: D3F30060 1D8215A2
	buffer_load_dwordx4 a[200:203], v91, s[24:27], 0 offen     // 000000003B30: E05C1000 8086C85B
	v_mfma_f32_16x16x32_fp8_fp8 v[96:99], a[164:165], a[12:13], v[96:99]// 000000003B38: D3F30060 1D8219A4
	v_mfma_f32_16x16x32_fp8_fp8 v[96:99], a[166:167], a[14:15], v[96:99]// 000000003B40: D3F30060 1D821DA6
	v_mfma_f32_16x16x32_fp8_fp8 v[136:139], a[168:169], a[8:9], v[136:139]// 000000003B48: D3F30088 1E2211A8
	v_mfma_f32_16x16x32_fp8_fp8 v[136:139], a[170:171], a[10:11], v[136:139]// 000000003B50: D3F30088 1E2215AA
	buffer_load_dwordx4 a[204:207], v91, s[24:27], 0 offen offset:1024// 000000003B58: E05C1400 8086CC5B
	buffer_load_dword v70, s[20:23], 0 offen lds               // 000000003B60: E0511000 80050046
	s_add_u32 m0, 0x100, s50                                   // 000000003B68: 807C32FF 00000100
	v_mfma_f32_16x16x32_fp8_fp8 v[136:139], a[172:173], a[12:13], v[136:139]// 000000003B70: D3F30088 1E2219AC
	v_mfma_f32_16x16x32_fp8_fp8 v[136:139], a[174:175], a[14:15], v[136:139]// 000000003B78: D3F30088 1E221DAE
	buffer_load_dword v71, s[20:23], 0 offen lds               // 000000003B80: E0511000 80050047
	s_add_u32 m0, 0x200, s50                                   // 000000003B88: 807C32FF 00000200
	v_mfma_f32_16x16x32_fp8_fp8 v[100:103], a[160:161], a[16:17], v[100:103]// 000000003B90: D3F30064 1D9221A0
	v_mfma_f32_16x16x32_fp8_fp8 v[100:103], a[162:163], a[18:19], v[100:103]// 000000003B98: D3F30064 1D9225A2
	buffer_load_dword v72, s[20:23], 0 offen lds               // 000000003BA0: E0511000 80050048
	s_add_u32 m0, 0x300, s50                                   // 000000003BA8: 807C32FF 00000300
	v_mfma_f32_16x16x32_fp8_fp8 v[100:103], a[164:165], a[20:21], v[100:103]// 000000003BB0: D3F30064 1D9229A4
	v_mfma_f32_16x16x32_fp8_fp8 v[100:103], a[166:167], a[22:23], v[100:103]// 000000003BB8: D3F30064 1D922DA6
	buffer_load_dword v73, s[20:23], 0 offen lds               // 000000003BC0: E0511000 80050049
	s_add_u32 m0, 0x400, s50                                   // 000000003BC8: 807C32FF 00000400
	v_mfma_f32_16x16x32_fp8_fp8 v[140:143], a[168:169], a[16:17], v[140:143]// 000000003BD0: D3F3008C 1E3221A8
	v_mfma_f32_16x16x32_fp8_fp8 v[140:143], a[170:171], a[18:19], v[140:143]// 000000003BD8: D3F3008C 1E3225AA
	buffer_load_dword v74, s[20:23], 0 offen lds               // 000000003BE0: E0511000 8005004A
	s_add_u32 m0, 0x500, s50                                   // 000000003BE8: 807C32FF 00000500
	v_mfma_f32_16x16x32_fp8_fp8 v[140:143], a[172:173], a[20:21], v[140:143]// 000000003BF0: D3F3008C 1E3229AC
	v_mfma_f32_16x16x32_fp8_fp8 v[140:143], a[174:175], a[22:23], v[140:143]// 000000003BF8: D3F3008C 1E322DAE
	buffer_load_dword v75, s[20:23], 0 offen lds               // 000000003C00: E0511000 8005004B
	s_add_u32 m0, 0x600, s50                                   // 000000003C08: 807C32FF 00000600
	v_mfma_f32_16x16x32_fp8_fp8 v[104:107], a[160:161], a[24:25], v[104:107]// 000000003C10: D3F30068 1DA231A0
	v_mfma_f32_16x16x32_fp8_fp8 v[104:107], a[162:163], a[26:27], v[104:107]// 000000003C18: D3F30068 1DA235A2
	buffer_load_dword v76, s[20:23], 0 offen lds               // 000000003C20: E0511000 8005004C
	s_add_u32 m0, 0x700, s50                                   // 000000003C28: 807C32FF 00000700
	v_mfma_f32_16x16x32_fp8_fp8 v[104:107], a[164:165], a[28:29], v[104:107]// 000000003C30: D3F30068 1DA239A4
	v_mfma_f32_16x16x32_fp8_fp8 v[104:107], a[166:167], a[30:31], v[104:107]// 000000003C38: D3F30068 1DA23DA6
	buffer_load_dword v77, s[20:23], 0 offen lds               // 000000003C40: E0511000 8005004D
	s_add_u32 m0, 0x800, s50                                   // 000000003C48: 807C32FF 00000800
	v_mfma_f32_16x16x32_fp8_fp8 v[144:147], a[168:169], a[24:25], v[144:147]// 000000003C50: D3F30090 1E4231A8
	v_mfma_f32_16x16x32_fp8_fp8 v[144:147], a[170:171], a[26:27], v[144:147]// 000000003C58: D3F30090 1E4235AA
	buffer_load_dword v78, s[20:23], 0 offen lds               // 000000003C60: E0511000 8005004E
	s_add_u32 m0, 0x900, s50                                   // 000000003C68: 807C32FF 00000900
	v_mfma_f32_16x16x32_fp8_fp8 v[144:147], a[172:173], a[28:29], v[144:147]// 000000003C70: D3F30090 1E4239AC
	v_mfma_f32_16x16x32_fp8_fp8 v[144:147], a[174:175], a[30:31], v[144:147]// 000000003C78: D3F30090 1E423DAE
	buffer_load_dword v79, s[20:23], 0 offen lds               // 000000003C80: E0511000 8005004F
	s_add_u32 m0, 0xa00, s50                                   // 000000003C88: 807C32FF 00000A00
	v_mfma_f32_16x16x32_fp8_fp8 v[108:111], a[160:161], a[32:33], v[108:111]// 000000003C90: D3F3006C 1DB241A0
	v_mfma_f32_16x16x32_fp8_fp8 v[108:111], a[162:163], a[34:35], v[108:111]// 000000003C98: D3F3006C 1DB245A2
	buffer_load_dword v80, s[20:23], 0 offen lds               // 000000003CA0: E0511000 80050050
	s_add_u32 m0, 0xb00, s50                                   // 000000003CA8: 807C32FF 00000B00
	v_mfma_f32_16x16x32_fp8_fp8 v[108:111], a[164:165], a[36:37], v[108:111]// 000000003CB0: D3F3006C 1DB249A4
	v_mfma_f32_16x16x32_fp8_fp8 v[108:111], a[166:167], a[38:39], v[108:111]// 000000003CB8: D3F3006C 1DB24DA6
	buffer_load_dword v81, s[20:23], 0 offen lds               // 000000003CC0: E0511000 80050051
	s_add_u32 m0, 0xc00, s50                                   // 000000003CC8: 807C32FF 00000C00
	v_mfma_f32_16x16x32_fp8_fp8 v[148:151], a[168:169], a[32:33], v[148:151]// 000000003CD0: D3F30094 1E5241A8
	v_mfma_f32_16x16x32_fp8_fp8 v[148:151], a[170:171], a[34:35], v[148:151]// 000000003CD8: D3F30094 1E5245AA
	buffer_load_dword v82, s[20:23], 0 offen lds               // 000000003CE0: E0511000 80050052
	s_add_u32 m0, 0xd00, s50                                   // 000000003CE8: 807C32FF 00000D00
	v_mfma_f32_16x16x32_fp8_fp8 v[148:151], a[172:173], a[36:37], v[148:151]// 000000003CF0: D3F30094 1E5249AC
	v_mfma_f32_16x16x32_fp8_fp8 v[148:151], a[174:175], a[38:39], v[148:151]// 000000003CF8: D3F30094 1E524DAE
	buffer_load_dword v83, s[20:23], 0 offen lds               // 000000003D00: E0511000 80050053
	s_add_u32 m0, 0xe00, s50                                   // 000000003D08: 807C32FF 00000E00
	v_mfma_f32_16x16x32_fp8_fp8 v[112:115], a[160:161], a[40:41], v[112:115]// 000000003D10: D3F30070 1DC251A0
	v_mfma_f32_16x16x32_fp8_fp8 v[112:115], a[162:163], a[42:43], v[112:115]// 000000003D18: D3F30070 1DC255A2
	buffer_load_dword v84, s[20:23], 0 offen lds               // 000000003D20: E0511000 80050054
	s_add_u32 m0, 0xf00, s50                                   // 000000003D28: 807C32FF 00000F00
	v_mfma_f32_16x16x32_fp8_fp8 v[112:115], a[164:165], a[44:45], v[112:115]// 000000003D30: D3F30070 1DC259A4
	v_mfma_f32_16x16x32_fp8_fp8 v[112:115], a[166:167], a[46:47], v[112:115]// 000000003D38: D3F30070 1DC25DA6
	buffer_load_dword v85, s[20:23], 0 offen lds               // 000000003D40: E0511000 80050055
	s_add_u32 m0, 0x1000, s50                                  // 000000003D48: 807C32FF 00001000
	v_mfma_f32_16x16x32_fp8_fp8 v[152:155], a[168:169], a[40:41], v[152:155]// 000000003D50: D3F30098 1E6251A8
	v_mfma_f32_16x16x32_fp8_fp8 v[152:155], a[170:171], a[42:43], v[152:155]// 000000003D58: D3F30098 1E6255AA
	buffer_load_dword v86, s[20:23], 0 offen lds               // 000000003D60: E0511000 80050056
	s_add_u32 m0, 0x1100, s50                                  // 000000003D68: 807C32FF 00001100
	v_mfma_f32_16x16x32_fp8_fp8 v[152:155], a[172:173], a[44:45], v[152:155]// 000000003D70: D3F30098 1E6259AC
	v_mfma_f32_16x16x32_fp8_fp8 v[152:155], a[174:175], a[46:47], v[152:155]// 000000003D78: D3F30098 1E625DAE
	buffer_load_dword v87, s[20:23], 0 offen lds               // 000000003D80: E0511000 80050057
	s_add_u32 m0, 0x1200, s50                                  // 000000003D88: 807C32FF 00001200
	v_mfma_f32_16x16x32_fp8_fp8 v[116:119], a[160:161], a[48:49], v[116:119]// 000000003D90: D3F30074 1DD261A0
	v_mfma_f32_16x16x32_fp8_fp8 v[116:119], a[162:163], a[50:51], v[116:119]// 000000003D98: D3F30074 1DD265A2
	buffer_load_dword v88, s[20:23], 0 offen lds               // 000000003DA0: E0511000 80050058
	s_add_u32 m0, 0x1300, s50                                  // 000000003DA8: 807C32FF 00001300
	v_mfma_f32_16x16x32_fp8_fp8 v[116:119], a[164:165], a[52:53], v[116:119]// 000000003DB0: D3F30074 1DD269A4
	v_mfma_f32_16x16x32_fp8_fp8 v[116:119], a[166:167], a[54:55], v[116:119]// 000000003DB8: D3F30074 1DD26DA6
	buffer_load_dword v89, s[20:23], 0 offen lds               // 000000003DC0: E0511000 80050059
	s_add_u32 m0, 0, s48                                       // 000000003DC8: 807C3080
	v_mfma_f32_16x16x32_fp8_fp8 v[156:159], a[168:169], a[48:49], v[156:159]// 000000003DCC: D3F3009C 1E7261A8
	v_mfma_f32_16x16x32_fp8_fp8 v[156:159], a[170:171], a[50:51], v[156:159]// 000000003DD4: D3F3009C 1E7265AA
	v_mfma_f32_16x16x32_fp8_fp8 v[156:159], a[172:173], a[52:53], v[156:159]// 000000003DDC: D3F3009C 1E7269AC
	v_mfma_f32_16x16x32_fp8_fp8 v[156:159], a[174:175], a[54:55], v[156:159]// 000000003DE4: D3F3009C 1E726DAE
	v_mfma_f32_16x16x32_fp8_fp8 v[120:123], a[160:161], a[56:57], v[120:123]// 000000003DEC: D3F30078 1DE271A0
	v_mfma_f32_16x16x32_fp8_fp8 v[120:123], a[162:163], a[58:59], v[120:123]// 000000003DF4: D3F30078 1DE275A2
	v_mfma_f32_16x16x32_fp8_fp8 v[120:123], a[164:165], a[60:61], v[120:123]// 000000003DFC: D3F30078 1DE279A4
	v_mfma_f32_16x16x32_fp8_fp8 v[120:123], a[166:167], a[62:63], v[120:123]// 000000003E04: D3F30078 1DE27DA6
	v_mfma_f32_16x16x32_fp8_fp8 v[160:163], a[168:169], a[56:57], v[160:163]// 000000003E0C: D3F300A0 1E8271A8
	v_mfma_f32_16x16x32_fp8_fp8 v[160:163], a[170:171], a[58:59], v[160:163]// 000000003E14: D3F300A0 1E8275AA
	v_mfma_f32_16x16x32_fp8_fp8 v[160:163], a[172:173], a[60:61], v[160:163]// 000000003E1C: D3F300A0 1E8279AC
	v_mfma_f32_16x16x32_fp8_fp8 v[160:163], a[174:175], a[62:63], v[160:163]// 000000003E24: D3F300A0 1E827DAE
	v_mfma_f32_16x16x32_fp8_fp8 v[124:127], a[160:161], a[64:65], v[124:127]// 000000003E2C: D3F3007C 1DF281A0
	v_mfma_f32_16x16x32_fp8_fp8 v[124:127], a[162:163], a[66:67], v[124:127]// 000000003E34: D3F3007C 1DF285A2
	v_mfma_f32_16x16x32_fp8_fp8 v[124:127], a[164:165], a[68:69], v[124:127]// 000000003E3C: D3F3007C 1DF289A4
	v_mfma_f32_16x16x32_fp8_fp8 v[124:127], a[166:167], a[70:71], v[124:127]// 000000003E44: D3F3007C 1DF28DA6
	v_mfma_f32_16x16x32_fp8_fp8 v[164:167], a[168:169], a[64:65], v[164:167]// 000000003E4C: D3F300A4 1E9281A8
	v_mfma_f32_16x16x32_fp8_fp8 v[164:167], a[170:171], a[66:67], v[164:167]// 000000003E54: D3F300A4 1E9285AA
	v_mfma_f32_16x16x32_fp8_fp8 v[164:167], a[172:173], a[68:69], v[164:167]// 000000003E5C: D3F300A4 1E9289AC
	v_mfma_f32_16x16x32_fp8_fp8 v[164:167], a[174:175], a[70:71], v[164:167]// 000000003E64: D3F300A4 1E928DAE
	v_mfma_f32_16x16x32_fp8_fp8 v[128:131], a[160:161], a[72:73], v[128:131]// 000000003E6C: D3F30080 1E0291A0
	v_mfma_f32_16x16x32_fp8_fp8 v[128:131], a[162:163], a[74:75], v[128:131]// 000000003E74: D3F30080 1E0295A2
	v_mfma_f32_16x16x32_fp8_fp8 v[128:131], a[164:165], a[76:77], v[128:131]// 000000003E7C: D3F30080 1E0299A4
	v_mfma_f32_16x16x32_fp8_fp8 v[128:131], a[166:167], a[78:79], v[128:131]// 000000003E84: D3F30080 1E029DA6
	v_mfma_f32_16x16x32_fp8_fp8 v[168:171], a[168:169], a[72:73], v[168:171]// 000000003E8C: D3F300A8 1EA291A8
	v_mfma_f32_16x16x32_fp8_fp8 v[168:171], a[170:171], a[74:75], v[168:171]// 000000003E94: D3F300A8 1EA295AA
	v_mfma_f32_16x16x32_fp8_fp8 v[168:171], a[172:173], a[76:77], v[168:171]// 000000003E9C: D3F300A8 1EA299AC
	v_mfma_f32_16x16x32_fp8_fp8 v[168:171], a[174:175], a[78:79], v[168:171]// 000000003EA4: D3F300A8 1EA29DAE
	s_waitcnt vmcnt(24)                                        // 000000003EAC: BF8C4F78
	s_barrier                                                  // 000000003EB0: BF8A0000
	v_mfma_f32_16x16x32_fp8_fp8 v[172:175], a[176:177], a[0:1], v[172:175]// 000000003EB4: D3F300AC 1EB201B0
	v_mfma_f32_16x16x32_fp8_fp8 v[172:175], a[178:179], a[2:3], v[172:175]// 000000003EBC: D3F300AC 1EB205B2
	buffer_load_dwordx4 a[160:163], v90, s[84:87], 0 offen     // 000000003EC4: E05C1000 8095A05A
	v_mfma_f32_16x16x32_fp8_fp8 v[172:175], a[180:181], a[4:5], v[172:175]// 000000003ECC: D3F300AC 1EB209B4
	v_mfma_f32_16x16x32_fp8_fp8 v[172:175], a[182:183], a[6:7], v[172:175]// 000000003ED4: D3F300AC 1EB20DB6
	ds_read_b128 a[80:83], v2 offset:20608                     // 000000003EDC: DBFE5080 50000002
	ds_read_b128 a[84:87], v2 offset:20672                     // 000000003EE4: DBFE50C0 54000002
	v_mfma_f32_16x16x32_fp8_fp8 v[212:215], a[184:185], a[0:1], v[212:215]// 000000003EEC: D3F300D4 1F5201B8
	v_mfma_f32_16x16x32_fp8_fp8 v[212:215], a[186:187], a[2:3], v[212:215]// 000000003EF4: D3F300D4 1F5205BA
	buffer_load_dwordx4 a[164:167], v90, s[84:87], 0 offen offset:1024// 000000003EFC: E05C1400 8095A45A
	v_mfma_f32_16x16x32_fp8_fp8 v[212:215], a[188:189], a[4:5], v[212:215]// 000000003F04: D3F300D4 1F5209BC
	v_mfma_f32_16x16x32_fp8_fp8 v[212:215], a[190:191], a[6:7], v[212:215]// 000000003F0C: D3F300D4 1F520DBE
	ds_read_b128 a[88:91], v2 offset:21120                     // 000000003F14: DBFE5280 58000002
	ds_read_b128 a[92:95], v2 offset:21184                     // 000000003F1C: DBFE52C0 5C000002
	v_mfma_f32_16x16x32_fp8_fp8 v[176:179], a[176:177], a[8:9], v[176:179]// 000000003F24: D3F300B0 1EC211B0
	v_mfma_f32_16x16x32_fp8_fp8 v[176:179], a[178:179], a[10:11], v[176:179]// 000000003F2C: D3F300B0 1EC215B2
	buffer_load_dwordx4 a[168:171], v91, s[84:87], 0 offen     // 000000003F34: E05C1000 8095A85B
	v_mfma_f32_16x16x32_fp8_fp8 v[176:179], a[180:181], a[12:13], v[176:179]// 000000003F3C: D3F300B0 1EC219B4
	v_mfma_f32_16x16x32_fp8_fp8 v[176:179], a[182:183], a[14:15], v[176:179]// 000000003F44: D3F300B0 1EC21DB6
	ds_read_b128 a[96:99], v2 offset:21632                     // 000000003F4C: DBFE5480 60000002
	ds_read_b128 a[100:103], v2 offset:21696                   // 000000003F54: DBFE54C0 64000002
	v_mfma_f32_16x16x32_fp8_fp8 v[216:219], a[184:185], a[8:9], v[216:219]// 000000003F5C: D3F300D8 1F6211B8
	v_mfma_f32_16x16x32_fp8_fp8 v[216:219], a[186:187], a[10:11], v[216:219]// 000000003F64: D3F300D8 1F6215BA
	buffer_load_dwordx4 a[172:175], v91, s[84:87], 0 offen offset:1024// 000000003F6C: E05C1400 8095AC5B
	v_mfma_f32_16x16x32_fp8_fp8 v[216:219], a[188:189], a[12:13], v[216:219]// 000000003F74: D3F300D8 1F6219BC
	v_mfma_f32_16x16x32_fp8_fp8 v[216:219], a[190:191], a[14:15], v[216:219]// 000000003F7C: D3F300D8 1F621DBE
	ds_read_b128 a[104:107], v2 offset:22144                   // 000000003F84: DBFE5680 68000002
	ds_read_b128 a[108:111], v2 offset:22208                   // 000000003F8C: DBFE56C0 6C000002
	v_mfma_f32_16x16x32_fp8_fp8 v[180:183], a[176:177], a[16:17], v[180:183]// 000000003F94: D3F300B4 1ED221B0
	v_mfma_f32_16x16x32_fp8_fp8 v[180:183], a[178:179], a[18:19], v[180:183]// 000000003F9C: D3F300B4 1ED225B2
	v_mfma_f32_16x16x32_fp8_fp8 v[180:183], a[180:181], a[20:21], v[180:183]// 000000003FA4: D3F300B4 1ED229B4
	v_mfma_f32_16x16x32_fp8_fp8 v[180:183], a[182:183], a[22:23], v[180:183]// 000000003FAC: D3F300B4 1ED22DB6
	ds_read_b128 a[112:115], v2 offset:22656                   // 000000003FB4: DBFE5880 70000002
	ds_read_b128 a[116:119], v2 offset:22720                   // 000000003FBC: DBFE58C0 74000002
	v_mfma_f32_16x16x32_fp8_fp8 v[220:223], a[184:185], a[16:17], v[220:223]// 000000003FC4: D3F300DC 1F7221B8
	v_mfma_f32_16x16x32_fp8_fp8 v[220:223], a[186:187], a[18:19], v[220:223]// 000000003FCC: D3F300DC 1F7225BA
	v_mfma_f32_16x16x32_fp8_fp8 v[220:223], a[188:189], a[20:21], v[220:223]// 000000003FD4: D3F300DC 1F7229BC
	v_mfma_f32_16x16x32_fp8_fp8 v[220:223], a[190:191], a[22:23], v[220:223]// 000000003FDC: D3F300DC 1F722DBE
	ds_read_b128 a[120:123], v2 offset:23168                   // 000000003FE4: DBFE5A80 78000002
	ds_read_b128 a[124:127], v2 offset:23232                   // 000000003FEC: DBFE5AC0 7C000002
	v_mfma_f32_16x16x32_fp8_fp8 v[184:187], a[176:177], a[24:25], v[184:187]// 000000003FF4: D3F300B8 1EE231B0
	v_mfma_f32_16x16x32_fp8_fp8 v[184:187], a[178:179], a[26:27], v[184:187]// 000000003FFC: D3F300B8 1EE235B2
	v_mfma_f32_16x16x32_fp8_fp8 v[184:187], a[180:181], a[28:29], v[184:187]// 000000004004: D3F300B8 1EE239B4
	v_mfma_f32_16x16x32_fp8_fp8 v[184:187], a[182:183], a[30:31], v[184:187]// 00000000400C: D3F300B8 1EE23DB6
	ds_read_b128 a[128:131], v2 offset:23680                   // 000000004014: DBFE5C80 80000002
	ds_read_b128 a[132:135], v2 offset:23744                   // 00000000401C: DBFE5CC0 84000002
	v_mfma_f32_16x16x32_fp8_fp8 v[224:227], a[184:185], a[24:25], v[224:227]// 000000004024: D3F300E0 1F8231B8
	v_mfma_f32_16x16x32_fp8_fp8 v[224:227], a[186:187], a[26:27], v[224:227]// 00000000402C: D3F300E0 1F8235BA
	v_mfma_f32_16x16x32_fp8_fp8 v[224:227], a[188:189], a[28:29], v[224:227]// 000000004034: D3F300E0 1F8239BC
	v_mfma_f32_16x16x32_fp8_fp8 v[224:227], a[190:191], a[30:31], v[224:227]// 00000000403C: D3F300E0 1F823DBE
	ds_read_b128 a[136:139], v2 offset:24192                   // 000000004044: DBFE5E80 88000002
	ds_read_b128 a[140:143], v2 offset:24256                   // 00000000404C: DBFE5EC0 8C000002
	v_mfma_f32_16x16x32_fp8_fp8 v[188:191], a[176:177], a[32:33], v[188:191]// 000000004054: D3F300BC 1EF241B0
	v_mfma_f32_16x16x32_fp8_fp8 v[188:191], a[178:179], a[34:35], v[188:191]// 00000000405C: D3F300BC 1EF245B2
	v_mfma_f32_16x16x32_fp8_fp8 v[188:191], a[180:181], a[36:37], v[188:191]// 000000004064: D3F300BC 1EF249B4
	v_mfma_f32_16x16x32_fp8_fp8 v[188:191], a[182:183], a[38:39], v[188:191]// 00000000406C: D3F300BC 1EF24DB6
	ds_read_b128 a[144:147], v2 offset:24704                   // 000000004074: DBFE6080 90000002
	ds_read_b128 a[148:151], v2 offset:24768                   // 00000000407C: DBFE60C0 94000002
	v_mfma_f32_16x16x32_fp8_fp8 v[228:231], a[184:185], a[32:33], v[228:231]// 000000004084: D3F300E4 1F9241B8
	v_mfma_f32_16x16x32_fp8_fp8 v[228:231], a[186:187], a[34:35], v[228:231]// 00000000408C: D3F300E4 1F9245BA
	v_mfma_f32_16x16x32_fp8_fp8 v[228:231], a[188:189], a[36:37], v[228:231]// 000000004094: D3F300E4 1F9249BC
	v_mfma_f32_16x16x32_fp8_fp8 v[228:231], a[190:191], a[38:39], v[228:231]// 00000000409C: D3F300E4 1F924DBE
	ds_read_b128 a[152:155], v2 offset:25216                   // 0000000040A4: DBFE6280 98000002
	ds_read_b128 a[156:159], v2 offset:25280                   // 0000000040AC: DBFE62C0 9C000002
	v_mfma_f32_16x16x32_fp8_fp8 v[192:195], a[176:177], a[40:41], v[192:195]// 0000000040B4: D3F300C0 1F0251B0
	v_mfma_f32_16x16x32_fp8_fp8 v[192:195], a[178:179], a[42:43], v[192:195]// 0000000040BC: D3F300C0 1F0255B2
	v_mfma_f32_16x16x32_fp8_fp8 v[192:195], a[180:181], a[44:45], v[192:195]// 0000000040C4: D3F300C0 1F0259B4
	v_mfma_f32_16x16x32_fp8_fp8 v[192:195], a[182:183], a[46:47], v[192:195]// 0000000040CC: D3F300C0 1F025DB6
	v_mfma_f32_16x16x32_fp8_fp8 v[232:235], a[184:185], a[40:41], v[232:235]// 0000000040D4: D3F300E8 1FA251B8
	v_mfma_f32_16x16x32_fp8_fp8 v[232:235], a[186:187], a[42:43], v[232:235]// 0000000040DC: D3F300E8 1FA255BA
	v_mfma_f32_16x16x32_fp8_fp8 v[232:235], a[188:189], a[44:45], v[232:235]// 0000000040E4: D3F300E8 1FA259BC
	v_mfma_f32_16x16x32_fp8_fp8 v[232:235], a[190:191], a[46:47], v[232:235]// 0000000040EC: D3F300E8 1FA25DBE
	v_mfma_f32_16x16x32_fp8_fp8 v[196:199], a[176:177], a[48:49], v[196:199]// 0000000040F4: D3F300C4 1F1261B0
	v_mfma_f32_16x16x32_fp8_fp8 v[196:199], a[178:179], a[50:51], v[196:199]// 0000000040FC: D3F300C4 1F1265B2
	v_mfma_f32_16x16x32_fp8_fp8 v[196:199], a[180:181], a[52:53], v[196:199]// 000000004104: D3F300C4 1F1269B4
	v_mfma_f32_16x16x32_fp8_fp8 v[196:199], a[182:183], a[54:55], v[196:199]// 00000000410C: D3F300C4 1F126DB6
	v_mfma_f32_16x16x32_fp8_fp8 v[236:239], a[184:185], a[48:49], v[236:239]// 000000004114: D3F300EC 1FB261B8
	v_mfma_f32_16x16x32_fp8_fp8 v[236:239], a[186:187], a[50:51], v[236:239]// 00000000411C: D3F300EC 1FB265BA
	v_mfma_f32_16x16x32_fp8_fp8 v[236:239], a[188:189], a[52:53], v[236:239]// 000000004124: D3F300EC 1FB269BC
	v_mfma_f32_16x16x32_fp8_fp8 v[236:239], a[190:191], a[54:55], v[236:239]// 00000000412C: D3F300EC 1FB26DBE
	v_mfma_f32_16x16x32_fp8_fp8 v[200:203], a[176:177], a[56:57], v[200:203]// 000000004134: D3F300C8 1F2271B0
	v_mfma_f32_16x16x32_fp8_fp8 v[200:203], a[178:179], a[58:59], v[200:203]// 00000000413C: D3F300C8 1F2275B2
	v_mfma_f32_16x16x32_fp8_fp8 v[200:203], a[180:181], a[60:61], v[200:203]// 000000004144: D3F300C8 1F2279B4
	v_mfma_f32_16x16x32_fp8_fp8 v[200:203], a[182:183], a[62:63], v[200:203]// 00000000414C: D3F300C8 1F227DB6
	v_mfma_f32_16x16x32_fp8_fp8 v[240:243], a[184:185], a[56:57], v[240:243]// 000000004154: D3F300F0 1FC271B8
	v_mfma_f32_16x16x32_fp8_fp8 v[240:243], a[186:187], a[58:59], v[240:243]// 00000000415C: D3F300F0 1FC275BA
	v_mfma_f32_16x16x32_fp8_fp8 v[240:243], a[188:189], a[60:61], v[240:243]// 000000004164: D3F300F0 1FC279BC
	v_mfma_f32_16x16x32_fp8_fp8 v[240:243], a[190:191], a[62:63], v[240:243]// 00000000416C: D3F300F0 1FC27DBE
	v_mfma_f32_16x16x32_fp8_fp8 v[204:207], a[176:177], a[64:65], v[204:207]// 000000004174: D3F300CC 1F3281B0
	v_mfma_f32_16x16x32_fp8_fp8 v[204:207], a[178:179], a[66:67], v[204:207]// 00000000417C: D3F300CC 1F3285B2
	v_mfma_f32_16x16x32_fp8_fp8 v[204:207], a[180:181], a[68:69], v[204:207]// 000000004184: D3F300CC 1F3289B4
	v_mfma_f32_16x16x32_fp8_fp8 v[204:207], a[182:183], a[70:71], v[204:207]// 00000000418C: D3F300CC 1F328DB6
	v_mfma_f32_16x16x32_fp8_fp8 v[244:247], a[184:185], a[64:65], v[244:247]// 000000004194: D3F300F4 1FD281B8
	v_mfma_f32_16x16x32_fp8_fp8 v[244:247], a[186:187], a[66:67], v[244:247]// 00000000419C: D3F300F4 1FD285BA
	v_mfma_f32_16x16x32_fp8_fp8 v[244:247], a[188:189], a[68:69], v[244:247]// 0000000041A4: D3F300F4 1FD289BC
	v_mfma_f32_16x16x32_fp8_fp8 v[244:247], a[190:191], a[70:71], v[244:247]// 0000000041AC: D3F300F4 1FD28DBE
	v_mfma_f32_16x16x32_fp8_fp8 v[208:211], a[176:177], a[72:73], v[208:211]// 0000000041B4: D3F300D0 1F4291B0
	s_add_u32 s60, 0x180, s80                                  // 0000000041BC: 803C50FF 00000180
	s_cmp_lt_u32 s60, s81                                      // 0000000041C4: BF0A513C
	s_cselect_b32 s57, s57, 0                                  // 0000000041C8: 85398039
	v_mfma_f32_16x16x32_fp8_fp8 v[208:211], a[178:179], a[74:75], v[208:211]// 0000000041CC: D3F300D0 1F4295B2
	s_add_u32 s60, 0x100, s80                                  // 0000000041D4: 803C50FF 00000100
	s_cmp_lt_u32 s60, s81                                      // 0000000041DC: BF0A513C
	s_cselect_b32 s58, s58, 0                                  // 0000000041E0: 853A803A
	v_mfma_f32_16x16x32_fp8_fp8 v[208:211], a[180:181], a[76:77], v[208:211]// 0000000041E4: D3F300D0 1F4299B4
	s_add_u32 s60, 0x100, s80                                  // 0000000041EC: 803C50FF 00000100
	s_cmp_lt_u32 s60, s81                                      // 0000000041F4: BF0A513C
	s_cselect_b32 s83, s83, 0                                  // 0000000041F8: 85538053
	v_mfma_f32_16x16x32_fp8_fp8 v[208:211], a[182:183], a[78:79], v[208:211]// 0000000041FC: D3F300D0 1F429DB6
	s_add_u32 s24, s58, s24                                    // 000000004204: 8018183A
	s_addc_u32 s25, 0, s25                                     // 000000004208: 82191980
	v_mfma_f32_16x16x32_fp8_fp8 v[248:251], a[184:185], a[72:73], v[248:251]// 00000000420C: D3F300F8 1FE291B8
	s_add_u32 s20, s57, s20                                    // 000000004214: 80141439
	s_addc_u32 s21, 0, s21                                     // 000000004218: 82151580
	v_mfma_f32_16x16x32_fp8_fp8 v[248:251], a[186:187], a[74:75], v[248:251]// 00000000421C: D3F300F8 1FE295BA
	s_add_u32 s84, s83, s84                                    // 000000004224: 80545453
	s_addc_u32 s85, 0, s85                                     // 000000004228: 82555580
	v_mfma_f32_16x16x32_fp8_fp8 v[248:251], a[188:189], a[76:77], v[248:251]// 00000000422C: D3F300F8 1FE299BC
	v_mfma_f32_16x16x32_fp8_fp8 v[248:251], a[190:191], a[78:79], v[248:251]// 000000004234: D3F300F8 1FE29DBE
	s_addk_i32 s80, 0x80                                       // 00000000423C: B7500080
	s_cmp_lt_i32 s80, s81                                      // 000000004240: BF045150
	s_cbranch_scc0 label_0F6E                                  // 000000004244: BF84095C
	s_waitcnt vmcnt(24) lgkmcnt(0)                             // 000000004248: BF8C4078
	v_mfma_f32_16x16x32_fp8_fp8 v[92:95], a[192:193], a[80:81], v[92:95]// 00000000424C: D3F3005C 1D72A1C0
	v_mfma_f32_16x16x32_fp8_fp8 v[92:95], a[194:195], a[82:83], v[92:95]// 000000004254: D3F3005C 1D72A5C2
	buffer_load_dwordx4 a[176:179], v90, s[24:27], 0 offen     // 00000000425C: E05C1000 8086B05A
	v_mfma_f32_16x16x32_fp8_fp8 v[92:95], a[196:197], a[84:85], v[92:95]// 000000004264: D3F3005C 1D72A9C4
	v_mfma_f32_16x16x32_fp8_fp8 v[92:95], a[198:199], a[86:87], v[92:95]// 00000000426C: D3F3005C 1D72ADC6
	v_mfma_f32_16x16x32_fp8_fp8 v[132:135], a[200:201], a[80:81], v[132:135]// 000000004274: D3F30084 1E12A1C8
	v_mfma_f32_16x16x32_fp8_fp8 v[132:135], a[202:203], a[82:83], v[132:135]// 00000000427C: D3F30084 1E12A5CA
	buffer_load_dwordx4 a[180:183], v90, s[24:27], 0 offen offset:1024// 000000004284: E05C1400 8086B45A
	v_mfma_f32_16x16x32_fp8_fp8 v[132:135], a[204:205], a[84:85], v[132:135]// 00000000428C: D3F30084 1E12A9CC
	v_mfma_f32_16x16x32_fp8_fp8 v[132:135], a[206:207], a[86:87], v[132:135]// 000000004294: D3F30084 1E12ADCE
	v_mfma_f32_16x16x32_fp8_fp8 v[96:99], a[192:193], a[88:89], v[96:99]// 00000000429C: D3F30060 1D82B1C0
	v_mfma_f32_16x16x32_fp8_fp8 v[96:99], a[194:195], a[90:91], v[96:99]// 0000000042A4: D3F30060 1D82B5C2
	buffer_load_dwordx4 a[184:187], v91, s[24:27], 0 offen     // 0000000042AC: E05C1000 8086B85B
	v_mfma_f32_16x16x32_fp8_fp8 v[96:99], a[196:197], a[92:93], v[96:99]// 0000000042B4: D3F30060 1D82B9C4
	v_mfma_f32_16x16x32_fp8_fp8 v[96:99], a[198:199], a[94:95], v[96:99]// 0000000042BC: D3F30060 1D82BDC6
	v_mfma_f32_16x16x32_fp8_fp8 v[136:139], a[200:201], a[88:89], v[136:139]// 0000000042C4: D3F30088 1E22B1C8
	v_mfma_f32_16x16x32_fp8_fp8 v[136:139], a[202:203], a[90:91], v[136:139]// 0000000042CC: D3F30088 1E22B5CA
	buffer_load_dwordx4 a[188:191], v91, s[24:27], 0 offen offset:1024// 0000000042D4: E05C1400 8086BC5B
	buffer_load_dword v70, s[20:23], 0 offen lds               // 0000000042DC: E0511000 80050046
	s_add_u32 m0, 0x100, s48                                   // 0000000042E4: 807C30FF 00000100
	v_mfma_f32_16x16x32_fp8_fp8 v[136:139], a[204:205], a[92:93], v[136:139]// 0000000042EC: D3F30088 1E22B9CC
	v_mfma_f32_16x16x32_fp8_fp8 v[136:139], a[206:207], a[94:95], v[136:139]// 0000000042F4: D3F30088 1E22BDCE
	buffer_load_dword v71, s[20:23], 0 offen lds               // 0000000042FC: E0511000 80050047
	s_add_u32 m0, 0x200, s48                                   // 000000004304: 807C30FF 00000200
	v_mfma_f32_16x16x32_fp8_fp8 v[100:103], a[192:193], a[96:97], v[100:103]// 00000000430C: D3F30064 1D92C1C0
	v_mfma_f32_16x16x32_fp8_fp8 v[100:103], a[194:195], a[98:99], v[100:103]// 000000004314: D3F30064 1D92C5C2
	buffer_load_dword v72, s[20:23], 0 offen lds               // 00000000431C: E0511000 80050048
	s_add_u32 m0, 0x300, s48                                   // 000000004324: 807C30FF 00000300
	v_mfma_f32_16x16x32_fp8_fp8 v[100:103], a[196:197], a[100:101], v[100:103]// 00000000432C: D3F30064 1D92C9C4
	v_mfma_f32_16x16x32_fp8_fp8 v[100:103], a[198:199], a[102:103], v[100:103]// 000000004334: D3F30064 1D92CDC6
	buffer_load_dword v73, s[20:23], 0 offen lds               // 00000000433C: E0511000 80050049
	s_add_u32 m0, 0x400, s48                                   // 000000004344: 807C30FF 00000400
	v_mfma_f32_16x16x32_fp8_fp8 v[140:143], a[200:201], a[96:97], v[140:143]// 00000000434C: D3F3008C 1E32C1C8
	v_mfma_f32_16x16x32_fp8_fp8 v[140:143], a[202:203], a[98:99], v[140:143]// 000000004354: D3F3008C 1E32C5CA
	buffer_load_dword v74, s[20:23], 0 offen lds               // 00000000435C: E0511000 8005004A
	s_add_u32 m0, 0x500, s48                                   // 000000004364: 807C30FF 00000500
	v_mfma_f32_16x16x32_fp8_fp8 v[140:143], a[204:205], a[100:101], v[140:143]// 00000000436C: D3F3008C 1E32C9CC
	v_mfma_f32_16x16x32_fp8_fp8 v[140:143], a[206:207], a[102:103], v[140:143]// 000000004374: D3F3008C 1E32CDCE
	buffer_load_dword v75, s[20:23], 0 offen lds               // 00000000437C: E0511000 8005004B
	s_add_u32 m0, 0x600, s48                                   // 000000004384: 807C30FF 00000600
	v_mfma_f32_16x16x32_fp8_fp8 v[104:107], a[192:193], a[104:105], v[104:107]// 00000000438C: D3F30068 1DA2D1C0
	v_mfma_f32_16x16x32_fp8_fp8 v[104:107], a[194:195], a[106:107], v[104:107]// 000000004394: D3F30068 1DA2D5C2
	buffer_load_dword v76, s[20:23], 0 offen lds               // 00000000439C: E0511000 8005004C
	s_add_u32 m0, 0x700, s48                                   // 0000000043A4: 807C30FF 00000700
	v_mfma_f32_16x16x32_fp8_fp8 v[104:107], a[196:197], a[108:109], v[104:107]// 0000000043AC: D3F30068 1DA2D9C4
	v_mfma_f32_16x16x32_fp8_fp8 v[104:107], a[198:199], a[110:111], v[104:107]// 0000000043B4: D3F30068 1DA2DDC6
	buffer_load_dword v77, s[20:23], 0 offen lds               // 0000000043BC: E0511000 8005004D
	s_add_u32 m0, 0x800, s48                                   // 0000000043C4: 807C30FF 00000800
	v_mfma_f32_16x16x32_fp8_fp8 v[144:147], a[200:201], a[104:105], v[144:147]// 0000000043CC: D3F30090 1E42D1C8
	v_mfma_f32_16x16x32_fp8_fp8 v[144:147], a[202:203], a[106:107], v[144:147]// 0000000043D4: D3F30090 1E42D5CA
	buffer_load_dword v78, s[20:23], 0 offen lds               // 0000000043DC: E0511000 8005004E
	s_add_u32 m0, 0x900, s48                                   // 0000000043E4: 807C30FF 00000900
	v_mfma_f32_16x16x32_fp8_fp8 v[144:147], a[204:205], a[108:109], v[144:147]// 0000000043EC: D3F30090 1E42D9CC
	v_mfma_f32_16x16x32_fp8_fp8 v[144:147], a[206:207], a[110:111], v[144:147]// 0000000043F4: D3F30090 1E42DDCE
	buffer_load_dword v79, s[20:23], 0 offen lds               // 0000000043FC: E0511000 8005004F
	s_add_u32 m0, 0xa00, s48                                   // 000000004404: 807C30FF 00000A00
	v_mfma_f32_16x16x32_fp8_fp8 v[108:111], a[192:193], a[112:113], v[108:111]// 00000000440C: D3F3006C 1DB2E1C0
	v_mfma_f32_16x16x32_fp8_fp8 v[108:111], a[194:195], a[114:115], v[108:111]// 000000004414: D3F3006C 1DB2E5C2
	buffer_load_dword v80, s[20:23], 0 offen lds               // 00000000441C: E0511000 80050050
	s_add_u32 m0, 0xb00, s48                                   // 000000004424: 807C30FF 00000B00
	v_mfma_f32_16x16x32_fp8_fp8 v[108:111], a[196:197], a[116:117], v[108:111]// 00000000442C: D3F3006C 1DB2E9C4
	v_mfma_f32_16x16x32_fp8_fp8 v[108:111], a[198:199], a[118:119], v[108:111]// 000000004434: D3F3006C 1DB2EDC6
	buffer_load_dword v81, s[20:23], 0 offen lds               // 00000000443C: E0511000 80050051
	s_add_u32 m0, 0xc00, s48                                   // 000000004444: 807C30FF 00000C00
	v_mfma_f32_16x16x32_fp8_fp8 v[148:151], a[200:201], a[112:113], v[148:151]// 00000000444C: D3F30094 1E52E1C8
	v_mfma_f32_16x16x32_fp8_fp8 v[148:151], a[202:203], a[114:115], v[148:151]// 000000004454: D3F30094 1E52E5CA
	buffer_load_dword v82, s[20:23], 0 offen lds               // 00000000445C: E0511000 80050052
	s_add_u32 m0, 0xd00, s48                                   // 000000004464: 807C30FF 00000D00
	v_mfma_f32_16x16x32_fp8_fp8 v[148:151], a[204:205], a[116:117], v[148:151]// 00000000446C: D3F30094 1E52E9CC
	v_mfma_f32_16x16x32_fp8_fp8 v[148:151], a[206:207], a[118:119], v[148:151]// 000000004474: D3F30094 1E52EDCE
	buffer_load_dword v83, s[20:23], 0 offen lds               // 00000000447C: E0511000 80050053
	s_add_u32 m0, 0xe00, s48                                   // 000000004484: 807C30FF 00000E00
	v_mfma_f32_16x16x32_fp8_fp8 v[112:115], a[192:193], a[120:121], v[112:115]// 00000000448C: D3F30070 1DC2F1C0
	v_mfma_f32_16x16x32_fp8_fp8 v[112:115], a[194:195], a[122:123], v[112:115]// 000000004494: D3F30070 1DC2F5C2
	buffer_load_dword v84, s[20:23], 0 offen lds               // 00000000449C: E0511000 80050054
	s_add_u32 m0, 0xf00, s48                                   // 0000000044A4: 807C30FF 00000F00
	v_mfma_f32_16x16x32_fp8_fp8 v[112:115], a[196:197], a[124:125], v[112:115]// 0000000044AC: D3F30070 1DC2F9C4
	v_mfma_f32_16x16x32_fp8_fp8 v[112:115], a[198:199], a[126:127], v[112:115]// 0000000044B4: D3F30070 1DC2FDC6
	buffer_load_dword v85, s[20:23], 0 offen lds               // 0000000044BC: E0511000 80050055
	s_add_u32 m0, 0x1000, s48                                  // 0000000044C4: 807C30FF 00001000
	v_mfma_f32_16x16x32_fp8_fp8 v[152:155], a[200:201], a[120:121], v[152:155]// 0000000044CC: D3F30098 1E62F1C8
	v_mfma_f32_16x16x32_fp8_fp8 v[152:155], a[202:203], a[122:123], v[152:155]// 0000000044D4: D3F30098 1E62F5CA
	buffer_load_dword v86, s[20:23], 0 offen lds               // 0000000044DC: E0511000 80050056
	s_add_u32 m0, 0x1100, s48                                  // 0000000044E4: 807C30FF 00001100
	v_mfma_f32_16x16x32_fp8_fp8 v[152:155], a[204:205], a[124:125], v[152:155]// 0000000044EC: D3F30098 1E62F9CC
	v_mfma_f32_16x16x32_fp8_fp8 v[152:155], a[206:207], a[126:127], v[152:155]// 0000000044F4: D3F30098 1E62FDCE
	buffer_load_dword v87, s[20:23], 0 offen lds               // 0000000044FC: E0511000 80050057
	s_add_u32 m0, 0x1200, s48                                  // 000000004504: 807C30FF 00001200
	v_mfma_f32_16x16x32_fp8_fp8 v[116:119], a[192:193], a[128:129], v[116:119]// 00000000450C: D3F30074 1DD301C0
	v_mfma_f32_16x16x32_fp8_fp8 v[116:119], a[194:195], a[130:131], v[116:119]// 000000004514: D3F30074 1DD305C2
	buffer_load_dword v88, s[20:23], 0 offen lds               // 00000000451C: E0511000 80050058
	s_add_u32 m0, 0x1300, s48                                  // 000000004524: 807C30FF 00001300
	v_mfma_f32_16x16x32_fp8_fp8 v[116:119], a[196:197], a[132:133], v[116:119]// 00000000452C: D3F30074 1DD309C4
	v_mfma_f32_16x16x32_fp8_fp8 v[116:119], a[198:199], a[134:135], v[116:119]// 000000004534: D3F30074 1DD30DC6
	buffer_load_dword v89, s[20:23], 0 offen lds               // 00000000453C: E0511000 80050059
	s_add_u32 m0, 0, s49                                       // 000000004544: 807C3180
	v_mfma_f32_16x16x32_fp8_fp8 v[156:159], a[200:201], a[128:129], v[156:159]// 000000004548: D3F3009C 1E7301C8
	v_mfma_f32_16x16x32_fp8_fp8 v[156:159], a[202:203], a[130:131], v[156:159]// 000000004550: D3F3009C 1E7305CA
	v_mfma_f32_16x16x32_fp8_fp8 v[156:159], a[204:205], a[132:133], v[156:159]// 000000004558: D3F3009C 1E7309CC
	v_mfma_f32_16x16x32_fp8_fp8 v[156:159], a[206:207], a[134:135], v[156:159]// 000000004560: D3F3009C 1E730DCE
	v_mfma_f32_16x16x32_fp8_fp8 v[120:123], a[192:193], a[136:137], v[120:123]// 000000004568: D3F30078 1DE311C0
	v_mfma_f32_16x16x32_fp8_fp8 v[120:123], a[194:195], a[138:139], v[120:123]// 000000004570: D3F30078 1DE315C2
	v_mfma_f32_16x16x32_fp8_fp8 v[120:123], a[196:197], a[140:141], v[120:123]// 000000004578: D3F30078 1DE319C4
	v_mfma_f32_16x16x32_fp8_fp8 v[120:123], a[198:199], a[142:143], v[120:123]// 000000004580: D3F30078 1DE31DC6
	v_mfma_f32_16x16x32_fp8_fp8 v[160:163], a[200:201], a[136:137], v[160:163]// 000000004588: D3F300A0 1E8311C8
	v_mfma_f32_16x16x32_fp8_fp8 v[160:163], a[202:203], a[138:139], v[160:163]// 000000004590: D3F300A0 1E8315CA
	v_mfma_f32_16x16x32_fp8_fp8 v[160:163], a[204:205], a[140:141], v[160:163]// 000000004598: D3F300A0 1E8319CC
	v_mfma_f32_16x16x32_fp8_fp8 v[160:163], a[206:207], a[142:143], v[160:163]// 0000000045A0: D3F300A0 1E831DCE
	v_mfma_f32_16x16x32_fp8_fp8 v[124:127], a[192:193], a[144:145], v[124:127]// 0000000045A8: D3F3007C 1DF321C0
	v_mfma_f32_16x16x32_fp8_fp8 v[124:127], a[194:195], a[146:147], v[124:127]// 0000000045B0: D3F3007C 1DF325C2
	v_mfma_f32_16x16x32_fp8_fp8 v[124:127], a[196:197], a[148:149], v[124:127]// 0000000045B8: D3F3007C 1DF329C4
	v_mfma_f32_16x16x32_fp8_fp8 v[124:127], a[198:199], a[150:151], v[124:127]// 0000000045C0: D3F3007C 1DF32DC6
	v_mfma_f32_16x16x32_fp8_fp8 v[164:167], a[200:201], a[144:145], v[164:167]// 0000000045C8: D3F300A4 1E9321C8
	v_mfma_f32_16x16x32_fp8_fp8 v[164:167], a[202:203], a[146:147], v[164:167]// 0000000045D0: D3F300A4 1E9325CA
	v_mfma_f32_16x16x32_fp8_fp8 v[164:167], a[204:205], a[148:149], v[164:167]// 0000000045D8: D3F300A4 1E9329CC
	v_mfma_f32_16x16x32_fp8_fp8 v[164:167], a[206:207], a[150:151], v[164:167]// 0000000045E0: D3F300A4 1E932DCE
	v_mfma_f32_16x16x32_fp8_fp8 v[128:131], a[192:193], a[152:153], v[128:131]// 0000000045E8: D3F30080 1E0331C0
	v_mfma_f32_16x16x32_fp8_fp8 v[128:131], a[194:195], a[154:155], v[128:131]// 0000000045F0: D3F30080 1E0335C2
	v_mfma_f32_16x16x32_fp8_fp8 v[128:131], a[196:197], a[156:157], v[128:131]// 0000000045F8: D3F30080 1E0339C4
	v_mfma_f32_16x16x32_fp8_fp8 v[128:131], a[198:199], a[158:159], v[128:131]// 000000004600: D3F30080 1E033DC6
	v_mfma_f32_16x16x32_fp8_fp8 v[168:171], a[200:201], a[152:153], v[168:171]// 000000004608: D3F300A8 1EA331C8
	v_mfma_f32_16x16x32_fp8_fp8 v[168:171], a[202:203], a[154:155], v[168:171]// 000000004610: D3F300A8 1EA335CA
	v_mfma_f32_16x16x32_fp8_fp8 v[168:171], a[204:205], a[156:157], v[168:171]// 000000004618: D3F300A8 1EA339CC
	v_mfma_f32_16x16x32_fp8_fp8 v[168:171], a[206:207], a[158:159], v[168:171]// 000000004620: D3F300A8 1EA33DCE
	s_waitcnt vmcnt(24)                                        // 000000004628: BF8C4F78
	s_barrier                                                  // 00000000462C: BF8A0000
	v_mfma_f32_16x16x32_fp8_fp8 v[172:175], a[160:161], a[80:81], v[172:175]// 000000004630: D3F300AC 1EB2A1A0
	v_mfma_f32_16x16x32_fp8_fp8 v[172:175], a[162:163], a[82:83], v[172:175]// 000000004638: D3F300AC 1EB2A5A2
	buffer_load_dwordx4 a[192:195], v90, s[84:87], 0 offen     // 000000004640: E05C1000 8095C05A
	v_mfma_f32_16x16x32_fp8_fp8 v[172:175], a[164:165], a[84:85], v[172:175]// 000000004648: D3F300AC 1EB2A9A4
	v_mfma_f32_16x16x32_fp8_fp8 v[172:175], a[166:167], a[86:87], v[172:175]// 000000004650: D3F300AC 1EB2ADA6
	ds_read_b128 a[0:3], v2 offset:41216                       // 000000004658: DBFEA100 00000002
	ds_read_b128 a[4:7], v2 offset:41280                       // 000000004660: DBFEA140 04000002
	v_mfma_f32_16x16x32_fp8_fp8 v[212:215], a[168:169], a[80:81], v[212:215]// 000000004668: D3F300D4 1F52A1A8
	v_mfma_f32_16x16x32_fp8_fp8 v[212:215], a[170:171], a[82:83], v[212:215]// 000000004670: D3F300D4 1F52A5AA
	buffer_load_dwordx4 a[196:199], v90, s[84:87], 0 offen offset:1024// 000000004678: E05C1400 8095C45A
	v_mfma_f32_16x16x32_fp8_fp8 v[212:215], a[172:173], a[84:85], v[212:215]// 000000004680: D3F300D4 1F52A9AC
	v_mfma_f32_16x16x32_fp8_fp8 v[212:215], a[174:175], a[86:87], v[212:215]// 000000004688: D3F300D4 1F52ADAE
	ds_read_b128 a[8:11], v2 offset:41728                      // 000000004690: DBFEA300 08000002
	ds_read_b128 a[12:15], v2 offset:41792                     // 000000004698: DBFEA340 0C000002
	v_mfma_f32_16x16x32_fp8_fp8 v[176:179], a[160:161], a[88:89], v[176:179]// 0000000046A0: D3F300B0 1EC2B1A0
	v_mfma_f32_16x16x32_fp8_fp8 v[176:179], a[162:163], a[90:91], v[176:179]// 0000000046A8: D3F300B0 1EC2B5A2
	buffer_load_dwordx4 a[200:203], v91, s[84:87], 0 offen     // 0000000046B0: E05C1000 8095C85B
	v_mfma_f32_16x16x32_fp8_fp8 v[176:179], a[164:165], a[92:93], v[176:179]// 0000000046B8: D3F300B0 1EC2B9A4
	v_mfma_f32_16x16x32_fp8_fp8 v[176:179], a[166:167], a[94:95], v[176:179]// 0000000046C0: D3F300B0 1EC2BDA6
	ds_read_b128 a[16:19], v2 offset:42240                     // 0000000046C8: DBFEA500 10000002
	ds_read_b128 a[20:23], v2 offset:42304                     // 0000000046D0: DBFEA540 14000002
	v_mfma_f32_16x16x32_fp8_fp8 v[216:219], a[168:169], a[88:89], v[216:219]// 0000000046D8: D3F300D8 1F62B1A8
	v_mfma_f32_16x16x32_fp8_fp8 v[216:219], a[170:171], a[90:91], v[216:219]// 0000000046E0: D3F300D8 1F62B5AA
	buffer_load_dwordx4 a[204:207], v91, s[84:87], 0 offen offset:1024// 0000000046E8: E05C1400 8095CC5B
	v_mfma_f32_16x16x32_fp8_fp8 v[216:219], a[172:173], a[92:93], v[216:219]// 0000000046F0: D3F300D8 1F62B9AC
	v_mfma_f32_16x16x32_fp8_fp8 v[216:219], a[174:175], a[94:95], v[216:219]// 0000000046F8: D3F300D8 1F62BDAE
	ds_read_b128 a[24:27], v2 offset:42752                     // 000000004700: DBFEA700 18000002
	ds_read_b128 a[28:31], v2 offset:42816                     // 000000004708: DBFEA740 1C000002
	v_mfma_f32_16x16x32_fp8_fp8 v[180:183], a[160:161], a[96:97], v[180:183]// 000000004710: D3F300B4 1ED2C1A0
	v_mfma_f32_16x16x32_fp8_fp8 v[180:183], a[162:163], a[98:99], v[180:183]// 000000004718: D3F300B4 1ED2C5A2
	v_mfma_f32_16x16x32_fp8_fp8 v[180:183], a[164:165], a[100:101], v[180:183]// 000000004720: D3F300B4 1ED2C9A4
	v_mfma_f32_16x16x32_fp8_fp8 v[180:183], a[166:167], a[102:103], v[180:183]// 000000004728: D3F300B4 1ED2CDA6
	ds_read_b128 a[32:35], v2 offset:43264                     // 000000004730: DBFEA900 20000002
	ds_read_b128 a[36:39], v2 offset:43328                     // 000000004738: DBFEA940 24000002
	v_mfma_f32_16x16x32_fp8_fp8 v[220:223], a[168:169], a[96:97], v[220:223]// 000000004740: D3F300DC 1F72C1A8
	v_mfma_f32_16x16x32_fp8_fp8 v[220:223], a[170:171], a[98:99], v[220:223]// 000000004748: D3F300DC 1F72C5AA
	v_mfma_f32_16x16x32_fp8_fp8 v[220:223], a[172:173], a[100:101], v[220:223]// 000000004750: D3F300DC 1F72C9AC
	v_mfma_f32_16x16x32_fp8_fp8 v[220:223], a[174:175], a[102:103], v[220:223]// 000000004758: D3F300DC 1F72CDAE
	ds_read_b128 a[40:43], v2 offset:43776                     // 000000004760: DBFEAB00 28000002
	ds_read_b128 a[44:47], v2 offset:43840                     // 000000004768: DBFEAB40 2C000002
	v_mfma_f32_16x16x32_fp8_fp8 v[184:187], a[160:161], a[104:105], v[184:187]// 000000004770: D3F300B8 1EE2D1A0
	v_mfma_f32_16x16x32_fp8_fp8 v[184:187], a[162:163], a[106:107], v[184:187]// 000000004778: D3F300B8 1EE2D5A2
	v_mfma_f32_16x16x32_fp8_fp8 v[184:187], a[164:165], a[108:109], v[184:187]// 000000004780: D3F300B8 1EE2D9A4
	v_mfma_f32_16x16x32_fp8_fp8 v[184:187], a[166:167], a[110:111], v[184:187]// 000000004788: D3F300B8 1EE2DDA6
	ds_read_b128 a[48:51], v2 offset:44288                     // 000000004790: DBFEAD00 30000002
	ds_read_b128 a[52:55], v2 offset:44352                     // 000000004798: DBFEAD40 34000002
	v_mfma_f32_16x16x32_fp8_fp8 v[224:227], a[168:169], a[104:105], v[224:227]// 0000000047A0: D3F300E0 1F82D1A8
	v_mfma_f32_16x16x32_fp8_fp8 v[224:227], a[170:171], a[106:107], v[224:227]// 0000000047A8: D3F300E0 1F82D5AA
	v_mfma_f32_16x16x32_fp8_fp8 v[224:227], a[172:173], a[108:109], v[224:227]// 0000000047B0: D3F300E0 1F82D9AC
	v_mfma_f32_16x16x32_fp8_fp8 v[224:227], a[174:175], a[110:111], v[224:227]// 0000000047B8: D3F300E0 1F82DDAE
	ds_read_b128 a[56:59], v2 offset:44800                     // 0000000047C0: DBFEAF00 38000002
	ds_read_b128 a[60:63], v2 offset:44864                     // 0000000047C8: DBFEAF40 3C000002
	v_mfma_f32_16x16x32_fp8_fp8 v[188:191], a[160:161], a[112:113], v[188:191]// 0000000047D0: D3F300BC 1EF2E1A0
	v_mfma_f32_16x16x32_fp8_fp8 v[188:191], a[162:163], a[114:115], v[188:191]// 0000000047D8: D3F300BC 1EF2E5A2
	v_mfma_f32_16x16x32_fp8_fp8 v[188:191], a[164:165], a[116:117], v[188:191]// 0000000047E0: D3F300BC 1EF2E9A4
	v_mfma_f32_16x16x32_fp8_fp8 v[188:191], a[166:167], a[118:119], v[188:191]// 0000000047E8: D3F300BC 1EF2EDA6
	ds_read_b128 a[64:67], v2 offset:45312                     // 0000000047F0: DBFEB100 40000002
	ds_read_b128 a[68:71], v2 offset:45376                     // 0000000047F8: DBFEB140 44000002
	v_mfma_f32_16x16x32_fp8_fp8 v[228:231], a[168:169], a[112:113], v[228:231]// 000000004800: D3F300E4 1F92E1A8
	v_mfma_f32_16x16x32_fp8_fp8 v[228:231], a[170:171], a[114:115], v[228:231]// 000000004808: D3F300E4 1F92E5AA
	v_mfma_f32_16x16x32_fp8_fp8 v[228:231], a[172:173], a[116:117], v[228:231]// 000000004810: D3F300E4 1F92E9AC
	v_mfma_f32_16x16x32_fp8_fp8 v[228:231], a[174:175], a[118:119], v[228:231]// 000000004818: D3F300E4 1F92EDAE
	ds_read_b128 a[72:75], v2 offset:45824                     // 000000004820: DBFEB300 48000002
	ds_read_b128 a[76:79], v2 offset:45888                     // 000000004828: DBFEB340 4C000002
	v_mfma_f32_16x16x32_fp8_fp8 v[192:195], a[160:161], a[120:121], v[192:195]// 000000004830: D3F300C0 1F02F1A0
	v_mfma_f32_16x16x32_fp8_fp8 v[192:195], a[162:163], a[122:123], v[192:195]// 000000004838: D3F300C0 1F02F5A2
	v_mfma_f32_16x16x32_fp8_fp8 v[192:195], a[164:165], a[124:125], v[192:195]// 000000004840: D3F300C0 1F02F9A4
	v_mfma_f32_16x16x32_fp8_fp8 v[192:195], a[166:167], a[126:127], v[192:195]// 000000004848: D3F300C0 1F02FDA6
	v_mfma_f32_16x16x32_fp8_fp8 v[232:235], a[168:169], a[120:121], v[232:235]// 000000004850: D3F300E8 1FA2F1A8
	v_mfma_f32_16x16x32_fp8_fp8 v[232:235], a[170:171], a[122:123], v[232:235]// 000000004858: D3F300E8 1FA2F5AA
	v_mfma_f32_16x16x32_fp8_fp8 v[232:235], a[172:173], a[124:125], v[232:235]// 000000004860: D3F300E8 1FA2F9AC
	v_mfma_f32_16x16x32_fp8_fp8 v[232:235], a[174:175], a[126:127], v[232:235]// 000000004868: D3F300E8 1FA2FDAE
	v_mfma_f32_16x16x32_fp8_fp8 v[196:199], a[160:161], a[128:129], v[196:199]// 000000004870: D3F300C4 1F1301A0
	v_mfma_f32_16x16x32_fp8_fp8 v[196:199], a[162:163], a[130:131], v[196:199]// 000000004878: D3F300C4 1F1305A2
	v_mfma_f32_16x16x32_fp8_fp8 v[196:199], a[164:165], a[132:133], v[196:199]// 000000004880: D3F300C4 1F1309A4
	v_mfma_f32_16x16x32_fp8_fp8 v[196:199], a[166:167], a[134:135], v[196:199]// 000000004888: D3F300C4 1F130DA6
	v_mfma_f32_16x16x32_fp8_fp8 v[236:239], a[168:169], a[128:129], v[236:239]// 000000004890: D3F300EC 1FB301A8
	v_mfma_f32_16x16x32_fp8_fp8 v[236:239], a[170:171], a[130:131], v[236:239]// 000000004898: D3F300EC 1FB305AA
	v_mfma_f32_16x16x32_fp8_fp8 v[236:239], a[172:173], a[132:133], v[236:239]// 0000000048A0: D3F300EC 1FB309AC
	v_mfma_f32_16x16x32_fp8_fp8 v[236:239], a[174:175], a[134:135], v[236:239]// 0000000048A8: D3F300EC 1FB30DAE
	v_mfma_f32_16x16x32_fp8_fp8 v[200:203], a[160:161], a[136:137], v[200:203]// 0000000048B0: D3F300C8 1F2311A0
	v_mfma_f32_16x16x32_fp8_fp8 v[200:203], a[162:163], a[138:139], v[200:203]// 0000000048B8: D3F300C8 1F2315A2
	v_mfma_f32_16x16x32_fp8_fp8 v[200:203], a[164:165], a[140:141], v[200:203]// 0000000048C0: D3F300C8 1F2319A4
	v_mfma_f32_16x16x32_fp8_fp8 v[200:203], a[166:167], a[142:143], v[200:203]// 0000000048C8: D3F300C8 1F231DA6
	v_mfma_f32_16x16x32_fp8_fp8 v[240:243], a[168:169], a[136:137], v[240:243]// 0000000048D0: D3F300F0 1FC311A8
	v_mfma_f32_16x16x32_fp8_fp8 v[240:243], a[170:171], a[138:139], v[240:243]// 0000000048D8: D3F300F0 1FC315AA
	v_mfma_f32_16x16x32_fp8_fp8 v[240:243], a[172:173], a[140:141], v[240:243]// 0000000048E0: D3F300F0 1FC319AC
	v_mfma_f32_16x16x32_fp8_fp8 v[240:243], a[174:175], a[142:143], v[240:243]// 0000000048E8: D3F300F0 1FC31DAE
	v_mfma_f32_16x16x32_fp8_fp8 v[204:207], a[160:161], a[144:145], v[204:207]// 0000000048F0: D3F300CC 1F3321A0
	v_mfma_f32_16x16x32_fp8_fp8 v[204:207], a[162:163], a[146:147], v[204:207]// 0000000048F8: D3F300CC 1F3325A2
	v_mfma_f32_16x16x32_fp8_fp8 v[204:207], a[164:165], a[148:149], v[204:207]// 000000004900: D3F300CC 1F3329A4
	v_mfma_f32_16x16x32_fp8_fp8 v[204:207], a[166:167], a[150:151], v[204:207]// 000000004908: D3F300CC 1F332DA6
	v_mfma_f32_16x16x32_fp8_fp8 v[244:247], a[168:169], a[144:145], v[244:247]// 000000004910: D3F300F4 1FD321A8
	v_mfma_f32_16x16x32_fp8_fp8 v[244:247], a[170:171], a[146:147], v[244:247]// 000000004918: D3F300F4 1FD325AA
	v_mfma_f32_16x16x32_fp8_fp8 v[244:247], a[172:173], a[148:149], v[244:247]// 000000004920: D3F300F4 1FD329AC
	v_mfma_f32_16x16x32_fp8_fp8 v[244:247], a[174:175], a[150:151], v[244:247]// 000000004928: D3F300F4 1FD32DAE
	v_mfma_f32_16x16x32_fp8_fp8 v[208:211], a[160:161], a[152:153], v[208:211]// 000000004930: D3F300D0 1F4331A0
	s_add_u32 s60, 0x180, s80                                  // 000000004938: 803C50FF 00000180
	s_cmp_lt_u32 s60, s81                                      // 000000004940: BF0A513C
	s_cselect_b32 s57, s57, 0                                  // 000000004944: 85398039
	v_mfma_f32_16x16x32_fp8_fp8 v[208:211], a[162:163], a[154:155], v[208:211]// 000000004948: D3F300D0 1F4335A2
	s_add_u32 s60, 0x100, s80                                  // 000000004950: 803C50FF 00000100
	s_cmp_lt_u32 s60, s81                                      // 000000004958: BF0A513C
	s_cselect_b32 s58, s58, 0                                  // 00000000495C: 853A803A
	v_mfma_f32_16x16x32_fp8_fp8 v[208:211], a[164:165], a[156:157], v[208:211]// 000000004960: D3F300D0 1F4339A4
	s_add_u32 s60, 0x100, s80                                  // 000000004968: 803C50FF 00000100
	s_cmp_lt_u32 s60, s81                                      // 000000004970: BF0A513C
	s_cselect_b32 s83, s83, 0                                  // 000000004974: 85538053
	v_mfma_f32_16x16x32_fp8_fp8 v[208:211], a[166:167], a[158:159], v[208:211]// 000000004978: D3F300D0 1F433DA6
	s_add_u32 s24, s58, s24                                    // 000000004980: 8018183A
	s_addc_u32 s25, 0, s25                                     // 000000004984: 82191980
	v_mfma_f32_16x16x32_fp8_fp8 v[248:251], a[168:169], a[152:153], v[248:251]// 000000004988: D3F300F8 1FE331A8
	s_add_u32 s20, s57, s20                                    // 000000004990: 80141439
	s_addc_u32 s21, 0, s21                                     // 000000004994: 82151580
	v_mfma_f32_16x16x32_fp8_fp8 v[248:251], a[170:171], a[154:155], v[248:251]// 000000004998: D3F300F8 1FE335AA
	s_add_u32 s84, s83, s84                                    // 0000000049A0: 80545453
	s_addc_u32 s85, 0, s85                                     // 0000000049A4: 82555580
	v_mfma_f32_16x16x32_fp8_fp8 v[248:251], a[172:173], a[156:157], v[248:251]// 0000000049A8: D3F300F8 1FE339AC
	v_mfma_f32_16x16x32_fp8_fp8 v[248:251], a[174:175], a[158:159], v[248:251]// 0000000049B0: D3F300F8 1FE33DAE
	s_addk_i32 s80, 0x80                                       // 0000000049B8: B7500080
	s_cmp_lt_i32 s80, s81                                      // 0000000049BC: BF045150
	s_cbranch_scc0 label_0F6E                                  // 0000000049C0: BF84077D
	s_waitcnt vmcnt(24) lgkmcnt(0)                             // 0000000049C4: BF8C4078
	v_mfma_f32_16x16x32_fp8_fp8 v[92:95], a[176:177], a[0:1], v[92:95]// 0000000049C8: D3F3005C 1D7201B0
	v_mfma_f32_16x16x32_fp8_fp8 v[92:95], a[178:179], a[2:3], v[92:95]// 0000000049D0: D3F3005C 1D7205B2
	buffer_load_dwordx4 a[160:163], v90, s[24:27], 0 offen     // 0000000049D8: E05C1000 8086A05A
	v_mfma_f32_16x16x32_fp8_fp8 v[92:95], a[180:181], a[4:5], v[92:95]// 0000000049E0: D3F3005C 1D7209B4
	v_mfma_f32_16x16x32_fp8_fp8 v[92:95], a[182:183], a[6:7], v[92:95]// 0000000049E8: D3F3005C 1D720DB6
	v_mfma_f32_16x16x32_fp8_fp8 v[132:135], a[184:185], a[0:1], v[132:135]// 0000000049F0: D3F30084 1E1201B8
	v_mfma_f32_16x16x32_fp8_fp8 v[132:135], a[186:187], a[2:3], v[132:135]// 0000000049F8: D3F30084 1E1205BA
	buffer_load_dwordx4 a[164:167], v90, s[24:27], 0 offen offset:1024// 000000004A00: E05C1400 8086A45A
	v_mfma_f32_16x16x32_fp8_fp8 v[132:135], a[188:189], a[4:5], v[132:135]// 000000004A08: D3F30084 1E1209BC
	v_mfma_f32_16x16x32_fp8_fp8 v[132:135], a[190:191], a[6:7], v[132:135]// 000000004A10: D3F30084 1E120DBE
	v_mfma_f32_16x16x32_fp8_fp8 v[96:99], a[176:177], a[8:9], v[96:99]// 000000004A18: D3F30060 1D8211B0
	v_mfma_f32_16x16x32_fp8_fp8 v[96:99], a[178:179], a[10:11], v[96:99]// 000000004A20: D3F30060 1D8215B2
	buffer_load_dwordx4 a[168:171], v91, s[24:27], 0 offen     // 000000004A28: E05C1000 8086A85B
	v_mfma_f32_16x16x32_fp8_fp8 v[96:99], a[180:181], a[12:13], v[96:99]// 000000004A30: D3F30060 1D8219B4
	v_mfma_f32_16x16x32_fp8_fp8 v[96:99], a[182:183], a[14:15], v[96:99]// 000000004A38: D3F30060 1D821DB6
	v_mfma_f32_16x16x32_fp8_fp8 v[136:139], a[184:185], a[8:9], v[136:139]// 000000004A40: D3F30088 1E2211B8
	v_mfma_f32_16x16x32_fp8_fp8 v[136:139], a[186:187], a[10:11], v[136:139]// 000000004A48: D3F30088 1E2215BA
	buffer_load_dwordx4 a[172:175], v91, s[24:27], 0 offen offset:1024// 000000004A50: E05C1400 8086AC5B
	buffer_load_dword v70, s[20:23], 0 offen lds               // 000000004A58: E0511000 80050046
	s_add_u32 m0, 0x100, s49                                   // 000000004A60: 807C31FF 00000100
	v_mfma_f32_16x16x32_fp8_fp8 v[136:139], a[188:189], a[12:13], v[136:139]// 000000004A68: D3F30088 1E2219BC
	v_mfma_f32_16x16x32_fp8_fp8 v[136:139], a[190:191], a[14:15], v[136:139]// 000000004A70: D3F30088 1E221DBE
	buffer_load_dword v71, s[20:23], 0 offen lds               // 000000004A78: E0511000 80050047
	s_add_u32 m0, 0x200, s49                                   // 000000004A80: 807C31FF 00000200
	v_mfma_f32_16x16x32_fp8_fp8 v[100:103], a[176:177], a[16:17], v[100:103]// 000000004A88: D3F30064 1D9221B0
	v_mfma_f32_16x16x32_fp8_fp8 v[100:103], a[178:179], a[18:19], v[100:103]// 000000004A90: D3F30064 1D9225B2
	buffer_load_dword v72, s[20:23], 0 offen lds               // 000000004A98: E0511000 80050048
	s_add_u32 m0, 0x300, s49                                   // 000000004AA0: 807C31FF 00000300
	v_mfma_f32_16x16x32_fp8_fp8 v[100:103], a[180:181], a[20:21], v[100:103]// 000000004AA8: D3F30064 1D9229B4
	v_mfma_f32_16x16x32_fp8_fp8 v[100:103], a[182:183], a[22:23], v[100:103]// 000000004AB0: D3F30064 1D922DB6
	buffer_load_dword v73, s[20:23], 0 offen lds               // 000000004AB8: E0511000 80050049
	s_add_u32 m0, 0x400, s49                                   // 000000004AC0: 807C31FF 00000400
	v_mfma_f32_16x16x32_fp8_fp8 v[140:143], a[184:185], a[16:17], v[140:143]// 000000004AC8: D3F3008C 1E3221B8
	v_mfma_f32_16x16x32_fp8_fp8 v[140:143], a[186:187], a[18:19], v[140:143]// 000000004AD0: D3F3008C 1E3225BA
	buffer_load_dword v74, s[20:23], 0 offen lds               // 000000004AD8: E0511000 8005004A
	s_add_u32 m0, 0x500, s49                                   // 000000004AE0: 807C31FF 00000500
	v_mfma_f32_16x16x32_fp8_fp8 v[140:143], a[188:189], a[20:21], v[140:143]// 000000004AE8: D3F3008C 1E3229BC
	v_mfma_f32_16x16x32_fp8_fp8 v[140:143], a[190:191], a[22:23], v[140:143]// 000000004AF0: D3F3008C 1E322DBE
	buffer_load_dword v75, s[20:23], 0 offen lds               // 000000004AF8: E0511000 8005004B
	s_add_u32 m0, 0x600, s49                                   // 000000004B00: 807C31FF 00000600
	v_mfma_f32_16x16x32_fp8_fp8 v[104:107], a[176:177], a[24:25], v[104:107]// 000000004B08: D3F30068 1DA231B0
	v_mfma_f32_16x16x32_fp8_fp8 v[104:107], a[178:179], a[26:27], v[104:107]// 000000004B10: D3F30068 1DA235B2
	buffer_load_dword v76, s[20:23], 0 offen lds               // 000000004B18: E0511000 8005004C
	s_add_u32 m0, 0x700, s49                                   // 000000004B20: 807C31FF 00000700
	v_mfma_f32_16x16x32_fp8_fp8 v[104:107], a[180:181], a[28:29], v[104:107]// 000000004B28: D3F30068 1DA239B4
	v_mfma_f32_16x16x32_fp8_fp8 v[104:107], a[182:183], a[30:31], v[104:107]// 000000004B30: D3F30068 1DA23DB6
	buffer_load_dword v77, s[20:23], 0 offen lds               // 000000004B38: E0511000 8005004D
	s_add_u32 m0, 0x800, s49                                   // 000000004B40: 807C31FF 00000800
	v_mfma_f32_16x16x32_fp8_fp8 v[144:147], a[184:185], a[24:25], v[144:147]// 000000004B48: D3F30090 1E4231B8
	v_mfma_f32_16x16x32_fp8_fp8 v[144:147], a[186:187], a[26:27], v[144:147]// 000000004B50: D3F30090 1E4235BA
	buffer_load_dword v78, s[20:23], 0 offen lds               // 000000004B58: E0511000 8005004E
	s_add_u32 m0, 0x900, s49                                   // 000000004B60: 807C31FF 00000900
	v_mfma_f32_16x16x32_fp8_fp8 v[144:147], a[188:189], a[28:29], v[144:147]// 000000004B68: D3F30090 1E4239BC
	v_mfma_f32_16x16x32_fp8_fp8 v[144:147], a[190:191], a[30:31], v[144:147]// 000000004B70: D3F30090 1E423DBE
	buffer_load_dword v79, s[20:23], 0 offen lds               // 000000004B78: E0511000 8005004F
	s_add_u32 m0, 0xa00, s49                                   // 000000004B80: 807C31FF 00000A00
	v_mfma_f32_16x16x32_fp8_fp8 v[108:111], a[176:177], a[32:33], v[108:111]// 000000004B88: D3F3006C 1DB241B0
	v_mfma_f32_16x16x32_fp8_fp8 v[108:111], a[178:179], a[34:35], v[108:111]// 000000004B90: D3F3006C 1DB245B2
	buffer_load_dword v80, s[20:23], 0 offen lds               // 000000004B98: E0511000 80050050
	s_add_u32 m0, 0xb00, s49                                   // 000000004BA0: 807C31FF 00000B00
	v_mfma_f32_16x16x32_fp8_fp8 v[108:111], a[180:181], a[36:37], v[108:111]// 000000004BA8: D3F3006C 1DB249B4
	v_mfma_f32_16x16x32_fp8_fp8 v[108:111], a[182:183], a[38:39], v[108:111]// 000000004BB0: D3F3006C 1DB24DB6
	buffer_load_dword v81, s[20:23], 0 offen lds               // 000000004BB8: E0511000 80050051
	s_add_u32 m0, 0xc00, s49                                   // 000000004BC0: 807C31FF 00000C00
	v_mfma_f32_16x16x32_fp8_fp8 v[148:151], a[184:185], a[32:33], v[148:151]// 000000004BC8: D3F30094 1E5241B8
	v_mfma_f32_16x16x32_fp8_fp8 v[148:151], a[186:187], a[34:35], v[148:151]// 000000004BD0: D3F30094 1E5245BA
	buffer_load_dword v82, s[20:23], 0 offen lds               // 000000004BD8: E0511000 80050052
	s_add_u32 m0, 0xd00, s49                                   // 000000004BE0: 807C31FF 00000D00
	v_mfma_f32_16x16x32_fp8_fp8 v[148:151], a[188:189], a[36:37], v[148:151]// 000000004BE8: D3F30094 1E5249BC
	v_mfma_f32_16x16x32_fp8_fp8 v[148:151], a[190:191], a[38:39], v[148:151]// 000000004BF0: D3F30094 1E524DBE
	buffer_load_dword v83, s[20:23], 0 offen lds               // 000000004BF8: E0511000 80050053
	s_add_u32 m0, 0xe00, s49                                   // 000000004C00: 807C31FF 00000E00
	v_mfma_f32_16x16x32_fp8_fp8 v[112:115], a[176:177], a[40:41], v[112:115]// 000000004C08: D3F30070 1DC251B0
	v_mfma_f32_16x16x32_fp8_fp8 v[112:115], a[178:179], a[42:43], v[112:115]// 000000004C10: D3F30070 1DC255B2
	buffer_load_dword v84, s[20:23], 0 offen lds               // 000000004C18: E0511000 80050054
	s_add_u32 m0, 0xf00, s49                                   // 000000004C20: 807C31FF 00000F00
	v_mfma_f32_16x16x32_fp8_fp8 v[112:115], a[180:181], a[44:45], v[112:115]// 000000004C28: D3F30070 1DC259B4
	v_mfma_f32_16x16x32_fp8_fp8 v[112:115], a[182:183], a[46:47], v[112:115]// 000000004C30: D3F30070 1DC25DB6
	buffer_load_dword v85, s[20:23], 0 offen lds               // 000000004C38: E0511000 80050055
	s_add_u32 m0, 0x1000, s49                                  // 000000004C40: 807C31FF 00001000
	v_mfma_f32_16x16x32_fp8_fp8 v[152:155], a[184:185], a[40:41], v[152:155]// 000000004C48: D3F30098 1E6251B8
	v_mfma_f32_16x16x32_fp8_fp8 v[152:155], a[186:187], a[42:43], v[152:155]// 000000004C50: D3F30098 1E6255BA
	buffer_load_dword v86, s[20:23], 0 offen lds               // 000000004C58: E0511000 80050056
	s_add_u32 m0, 0x1100, s49                                  // 000000004C60: 807C31FF 00001100
	v_mfma_f32_16x16x32_fp8_fp8 v[152:155], a[188:189], a[44:45], v[152:155]// 000000004C68: D3F30098 1E6259BC
	v_mfma_f32_16x16x32_fp8_fp8 v[152:155], a[190:191], a[46:47], v[152:155]// 000000004C70: D3F30098 1E625DBE
	buffer_load_dword v87, s[20:23], 0 offen lds               // 000000004C78: E0511000 80050057
	s_add_u32 m0, 0x1200, s49                                  // 000000004C80: 807C31FF 00001200
	v_mfma_f32_16x16x32_fp8_fp8 v[116:119], a[176:177], a[48:49], v[116:119]// 000000004C88: D3F30074 1DD261B0
	v_mfma_f32_16x16x32_fp8_fp8 v[116:119], a[178:179], a[50:51], v[116:119]// 000000004C90: D3F30074 1DD265B2
	buffer_load_dword v88, s[20:23], 0 offen lds               // 000000004C98: E0511000 80050058
	s_add_u32 m0, 0x1300, s49                                  // 000000004CA0: 807C31FF 00001300
	v_mfma_f32_16x16x32_fp8_fp8 v[116:119], a[180:181], a[52:53], v[116:119]// 000000004CA8: D3F30074 1DD269B4
	v_mfma_f32_16x16x32_fp8_fp8 v[116:119], a[182:183], a[54:55], v[116:119]// 000000004CB0: D3F30074 1DD26DB6
	buffer_load_dword v89, s[20:23], 0 offen lds               // 000000004CB8: E0511000 80050059
	s_add_u32 m0, 0, s50                                       // 000000004CC0: 807C3280
	v_mfma_f32_16x16x32_fp8_fp8 v[156:159], a[184:185], a[48:49], v[156:159]// 000000004CC4: D3F3009C 1E7261B8
	v_mfma_f32_16x16x32_fp8_fp8 v[156:159], a[186:187], a[50:51], v[156:159]// 000000004CCC: D3F3009C 1E7265BA
	v_mfma_f32_16x16x32_fp8_fp8 v[156:159], a[188:189], a[52:53], v[156:159]// 000000004CD4: D3F3009C 1E7269BC
	v_mfma_f32_16x16x32_fp8_fp8 v[156:159], a[190:191], a[54:55], v[156:159]// 000000004CDC: D3F3009C 1E726DBE
	v_mfma_f32_16x16x32_fp8_fp8 v[120:123], a[176:177], a[56:57], v[120:123]// 000000004CE4: D3F30078 1DE271B0
	v_mfma_f32_16x16x32_fp8_fp8 v[120:123], a[178:179], a[58:59], v[120:123]// 000000004CEC: D3F30078 1DE275B2
	v_mfma_f32_16x16x32_fp8_fp8 v[120:123], a[180:181], a[60:61], v[120:123]// 000000004CF4: D3F30078 1DE279B4
	v_mfma_f32_16x16x32_fp8_fp8 v[120:123], a[182:183], a[62:63], v[120:123]// 000000004CFC: D3F30078 1DE27DB6
	v_mfma_f32_16x16x32_fp8_fp8 v[160:163], a[184:185], a[56:57], v[160:163]// 000000004D04: D3F300A0 1E8271B8
	v_mfma_f32_16x16x32_fp8_fp8 v[160:163], a[186:187], a[58:59], v[160:163]// 000000004D0C: D3F300A0 1E8275BA
	v_mfma_f32_16x16x32_fp8_fp8 v[160:163], a[188:189], a[60:61], v[160:163]// 000000004D14: D3F300A0 1E8279BC
	v_mfma_f32_16x16x32_fp8_fp8 v[160:163], a[190:191], a[62:63], v[160:163]// 000000004D1C: D3F300A0 1E827DBE
	v_mfma_f32_16x16x32_fp8_fp8 v[124:127], a[176:177], a[64:65], v[124:127]// 000000004D24: D3F3007C 1DF281B0
	v_mfma_f32_16x16x32_fp8_fp8 v[124:127], a[178:179], a[66:67], v[124:127]// 000000004D2C: D3F3007C 1DF285B2
	v_mfma_f32_16x16x32_fp8_fp8 v[124:127], a[180:181], a[68:69], v[124:127]// 000000004D34: D3F3007C 1DF289B4
	v_mfma_f32_16x16x32_fp8_fp8 v[124:127], a[182:183], a[70:71], v[124:127]// 000000004D3C: D3F3007C 1DF28DB6
	v_mfma_f32_16x16x32_fp8_fp8 v[164:167], a[184:185], a[64:65], v[164:167]// 000000004D44: D3F300A4 1E9281B8
	v_mfma_f32_16x16x32_fp8_fp8 v[164:167], a[186:187], a[66:67], v[164:167]// 000000004D4C: D3F300A4 1E9285BA
	v_mfma_f32_16x16x32_fp8_fp8 v[164:167], a[188:189], a[68:69], v[164:167]// 000000004D54: D3F300A4 1E9289BC
	v_mfma_f32_16x16x32_fp8_fp8 v[164:167], a[190:191], a[70:71], v[164:167]// 000000004D5C: D3F300A4 1E928DBE
	v_mfma_f32_16x16x32_fp8_fp8 v[128:131], a[176:177], a[72:73], v[128:131]// 000000004D64: D3F30080 1E0291B0
	v_mfma_f32_16x16x32_fp8_fp8 v[128:131], a[178:179], a[74:75], v[128:131]// 000000004D6C: D3F30080 1E0295B2
	v_mfma_f32_16x16x32_fp8_fp8 v[128:131], a[180:181], a[76:77], v[128:131]// 000000004D74: D3F30080 1E0299B4
	v_mfma_f32_16x16x32_fp8_fp8 v[128:131], a[182:183], a[78:79], v[128:131]// 000000004D7C: D3F30080 1E029DB6
	v_mfma_f32_16x16x32_fp8_fp8 v[168:171], a[184:185], a[72:73], v[168:171]// 000000004D84: D3F300A8 1EA291B8
	v_mfma_f32_16x16x32_fp8_fp8 v[168:171], a[186:187], a[74:75], v[168:171]// 000000004D8C: D3F300A8 1EA295BA
	v_mfma_f32_16x16x32_fp8_fp8 v[168:171], a[188:189], a[76:77], v[168:171]// 000000004D94: D3F300A8 1EA299BC
	v_mfma_f32_16x16x32_fp8_fp8 v[168:171], a[190:191], a[78:79], v[168:171]// 000000004D9C: D3F300A8 1EA29DBE
	s_waitcnt vmcnt(24)                                        // 000000004DA4: BF8C4F78
	s_barrier                                                  // 000000004DA8: BF8A0000
	v_mfma_f32_16x16x32_fp8_fp8 v[172:175], a[192:193], a[0:1], v[172:175]// 000000004DAC: D3F300AC 1EB201C0
	v_mfma_f32_16x16x32_fp8_fp8 v[172:175], a[194:195], a[2:3], v[172:175]// 000000004DB4: D3F300AC 1EB205C2
	buffer_load_dwordx4 a[176:179], v90, s[84:87], 0 offen     // 000000004DBC: E05C1000 8095B05A
	v_mfma_f32_16x16x32_fp8_fp8 v[172:175], a[196:197], a[4:5], v[172:175]// 000000004DC4: D3F300AC 1EB209C4
	v_mfma_f32_16x16x32_fp8_fp8 v[172:175], a[198:199], a[6:7], v[172:175]// 000000004DCC: D3F300AC 1EB20DC6
	ds_read_b128 a[80:83], v2                                  // 000000004DD4: DBFE0000 50000002
	ds_read_b128 a[84:87], v2 offset:64                        // 000000004DDC: DBFE0040 54000002
	v_mfma_f32_16x16x32_fp8_fp8 v[212:215], a[200:201], a[0:1], v[212:215]// 000000004DE4: D3F300D4 1F5201C8
	v_mfma_f32_16x16x32_fp8_fp8 v[212:215], a[202:203], a[2:3], v[212:215]// 000000004DEC: D3F300D4 1F5205CA
	buffer_load_dwordx4 a[180:183], v90, s[84:87], 0 offen offset:1024// 000000004DF4: E05C1400 8095B45A
	v_mfma_f32_16x16x32_fp8_fp8 v[212:215], a[204:205], a[4:5], v[212:215]// 000000004DFC: D3F300D4 1F5209CC
	v_mfma_f32_16x16x32_fp8_fp8 v[212:215], a[206:207], a[6:7], v[212:215]// 000000004E04: D3F300D4 1F520DCE
	ds_read_b128 a[88:91], v2 offset:512                       // 000000004E0C: DBFE0200 58000002
	ds_read_b128 a[92:95], v2 offset:576                       // 000000004E14: DBFE0240 5C000002
	v_mfma_f32_16x16x32_fp8_fp8 v[176:179], a[192:193], a[8:9], v[176:179]// 000000004E1C: D3F300B0 1EC211C0
	v_mfma_f32_16x16x32_fp8_fp8 v[176:179], a[194:195], a[10:11], v[176:179]// 000000004E24: D3F300B0 1EC215C2
	buffer_load_dwordx4 a[184:187], v91, s[84:87], 0 offen     // 000000004E2C: E05C1000 8095B85B
	v_mfma_f32_16x16x32_fp8_fp8 v[176:179], a[196:197], a[12:13], v[176:179]// 000000004E34: D3F300B0 1EC219C4
	v_mfma_f32_16x16x32_fp8_fp8 v[176:179], a[198:199], a[14:15], v[176:179]// 000000004E3C: D3F300B0 1EC21DC6
	ds_read_b128 a[96:99], v2 offset:1024                      // 000000004E44: DBFE0400 60000002
	ds_read_b128 a[100:103], v2 offset:1088                    // 000000004E4C: DBFE0440 64000002
	v_mfma_f32_16x16x32_fp8_fp8 v[216:219], a[200:201], a[8:9], v[216:219]// 000000004E54: D3F300D8 1F6211C8
	v_mfma_f32_16x16x32_fp8_fp8 v[216:219], a[202:203], a[10:11], v[216:219]// 000000004E5C: D3F300D8 1F6215CA
	buffer_load_dwordx4 a[188:191], v91, s[84:87], 0 offen offset:1024// 000000004E64: E05C1400 8095BC5B
	v_mfma_f32_16x16x32_fp8_fp8 v[216:219], a[204:205], a[12:13], v[216:219]// 000000004E6C: D3F300D8 1F6219CC
	v_mfma_f32_16x16x32_fp8_fp8 v[216:219], a[206:207], a[14:15], v[216:219]// 000000004E74: D3F300D8 1F621DCE
	ds_read_b128 a[104:107], v2 offset:1536                    // 000000004E7C: DBFE0600 68000002
	ds_read_b128 a[108:111], v2 offset:1600                    // 000000004E84: DBFE0640 6C000002
	v_mfma_f32_16x16x32_fp8_fp8 v[180:183], a[192:193], a[16:17], v[180:183]// 000000004E8C: D3F300B4 1ED221C0
	v_mfma_f32_16x16x32_fp8_fp8 v[180:183], a[194:195], a[18:19], v[180:183]// 000000004E94: D3F300B4 1ED225C2
	v_mfma_f32_16x16x32_fp8_fp8 v[180:183], a[196:197], a[20:21], v[180:183]// 000000004E9C: D3F300B4 1ED229C4
	v_mfma_f32_16x16x32_fp8_fp8 v[180:183], a[198:199], a[22:23], v[180:183]// 000000004EA4: D3F300B4 1ED22DC6
	ds_read_b128 a[112:115], v2 offset:2048                    // 000000004EAC: DBFE0800 70000002
	ds_read_b128 a[116:119], v2 offset:2112                    // 000000004EB4: DBFE0840 74000002
	v_mfma_f32_16x16x32_fp8_fp8 v[220:223], a[200:201], a[16:17], v[220:223]// 000000004EBC: D3F300DC 1F7221C8
	v_mfma_f32_16x16x32_fp8_fp8 v[220:223], a[202:203], a[18:19], v[220:223]// 000000004EC4: D3F300DC 1F7225CA
	v_mfma_f32_16x16x32_fp8_fp8 v[220:223], a[204:205], a[20:21], v[220:223]// 000000004ECC: D3F300DC 1F7229CC
	v_mfma_f32_16x16x32_fp8_fp8 v[220:223], a[206:207], a[22:23], v[220:223]// 000000004ED4: D3F300DC 1F722DCE
	ds_read_b128 a[120:123], v2 offset:2560                    // 000000004EDC: DBFE0A00 78000002
	ds_read_b128 a[124:127], v2 offset:2624                    // 000000004EE4: DBFE0A40 7C000002
	v_mfma_f32_16x16x32_fp8_fp8 v[184:187], a[192:193], a[24:25], v[184:187]// 000000004EEC: D3F300B8 1EE231C0
	v_mfma_f32_16x16x32_fp8_fp8 v[184:187], a[194:195], a[26:27], v[184:187]// 000000004EF4: D3F300B8 1EE235C2
	v_mfma_f32_16x16x32_fp8_fp8 v[184:187], a[196:197], a[28:29], v[184:187]// 000000004EFC: D3F300B8 1EE239C4
	v_mfma_f32_16x16x32_fp8_fp8 v[184:187], a[198:199], a[30:31], v[184:187]// 000000004F04: D3F300B8 1EE23DC6
	ds_read_b128 a[128:131], v2 offset:3072                    // 000000004F0C: DBFE0C00 80000002
	ds_read_b128 a[132:135], v2 offset:3136                    // 000000004F14: DBFE0C40 84000002
	v_mfma_f32_16x16x32_fp8_fp8 v[224:227], a[200:201], a[24:25], v[224:227]// 000000004F1C: D3F300E0 1F8231C8
	v_mfma_f32_16x16x32_fp8_fp8 v[224:227], a[202:203], a[26:27], v[224:227]// 000000004F24: D3F300E0 1F8235CA
	v_mfma_f32_16x16x32_fp8_fp8 v[224:227], a[204:205], a[28:29], v[224:227]// 000000004F2C: D3F300E0 1F8239CC
	v_mfma_f32_16x16x32_fp8_fp8 v[224:227], a[206:207], a[30:31], v[224:227]// 000000004F34: D3F300E0 1F823DCE
	ds_read_b128 a[136:139], v2 offset:3584                    // 000000004F3C: DBFE0E00 88000002
	ds_read_b128 a[140:143], v2 offset:3648                    // 000000004F44: DBFE0E40 8C000002
	v_mfma_f32_16x16x32_fp8_fp8 v[188:191], a[192:193], a[32:33], v[188:191]// 000000004F4C: D3F300BC 1EF241C0
	v_mfma_f32_16x16x32_fp8_fp8 v[188:191], a[194:195], a[34:35], v[188:191]// 000000004F54: D3F300BC 1EF245C2
	v_mfma_f32_16x16x32_fp8_fp8 v[188:191], a[196:197], a[36:37], v[188:191]// 000000004F5C: D3F300BC 1EF249C4
	v_mfma_f32_16x16x32_fp8_fp8 v[188:191], a[198:199], a[38:39], v[188:191]// 000000004F64: D3F300BC 1EF24DC6
	ds_read_b128 a[144:147], v2 offset:4096                    // 000000004F6C: DBFE1000 90000002
	ds_read_b128 a[148:151], v2 offset:4160                    // 000000004F74: DBFE1040 94000002
	v_mfma_f32_16x16x32_fp8_fp8 v[228:231], a[200:201], a[32:33], v[228:231]// 000000004F7C: D3F300E4 1F9241C8
	v_mfma_f32_16x16x32_fp8_fp8 v[228:231], a[202:203], a[34:35], v[228:231]// 000000004F84: D3F300E4 1F9245CA
	v_mfma_f32_16x16x32_fp8_fp8 v[228:231], a[204:205], a[36:37], v[228:231]// 000000004F8C: D3F300E4 1F9249CC
	v_mfma_f32_16x16x32_fp8_fp8 v[228:231], a[206:207], a[38:39], v[228:231]// 000000004F94: D3F300E4 1F924DCE
	ds_read_b128 a[152:155], v2 offset:4608                    // 000000004F9C: DBFE1200 98000002
	ds_read_b128 a[156:159], v2 offset:4672                    // 000000004FA4: DBFE1240 9C000002
	v_mfma_f32_16x16x32_fp8_fp8 v[192:195], a[192:193], a[40:41], v[192:195]// 000000004FAC: D3F300C0 1F0251C0
	v_mfma_f32_16x16x32_fp8_fp8 v[192:195], a[194:195], a[42:43], v[192:195]// 000000004FB4: D3F300C0 1F0255C2
	v_mfma_f32_16x16x32_fp8_fp8 v[192:195], a[196:197], a[44:45], v[192:195]// 000000004FBC: D3F300C0 1F0259C4
	v_mfma_f32_16x16x32_fp8_fp8 v[192:195], a[198:199], a[46:47], v[192:195]// 000000004FC4: D3F300C0 1F025DC6
	v_mfma_f32_16x16x32_fp8_fp8 v[232:235], a[200:201], a[40:41], v[232:235]// 000000004FCC: D3F300E8 1FA251C8
	v_mfma_f32_16x16x32_fp8_fp8 v[232:235], a[202:203], a[42:43], v[232:235]// 000000004FD4: D3F300E8 1FA255CA
	v_mfma_f32_16x16x32_fp8_fp8 v[232:235], a[204:205], a[44:45], v[232:235]// 000000004FDC: D3F300E8 1FA259CC
	v_mfma_f32_16x16x32_fp8_fp8 v[232:235], a[206:207], a[46:47], v[232:235]// 000000004FE4: D3F300E8 1FA25DCE
	v_mfma_f32_16x16x32_fp8_fp8 v[196:199], a[192:193], a[48:49], v[196:199]// 000000004FEC: D3F300C4 1F1261C0
	v_mfma_f32_16x16x32_fp8_fp8 v[196:199], a[194:195], a[50:51], v[196:199]// 000000004FF4: D3F300C4 1F1265C2
	v_mfma_f32_16x16x32_fp8_fp8 v[196:199], a[196:197], a[52:53], v[196:199]// 000000004FFC: D3F300C4 1F1269C4
	v_mfma_f32_16x16x32_fp8_fp8 v[196:199], a[198:199], a[54:55], v[196:199]// 000000005004: D3F300C4 1F126DC6
	v_mfma_f32_16x16x32_fp8_fp8 v[236:239], a[200:201], a[48:49], v[236:239]// 00000000500C: D3F300EC 1FB261C8
	v_mfma_f32_16x16x32_fp8_fp8 v[236:239], a[202:203], a[50:51], v[236:239]// 000000005014: D3F300EC 1FB265CA
	v_mfma_f32_16x16x32_fp8_fp8 v[236:239], a[204:205], a[52:53], v[236:239]// 00000000501C: D3F300EC 1FB269CC
	v_mfma_f32_16x16x32_fp8_fp8 v[236:239], a[206:207], a[54:55], v[236:239]// 000000005024: D3F300EC 1FB26DCE
	v_mfma_f32_16x16x32_fp8_fp8 v[200:203], a[192:193], a[56:57], v[200:203]// 00000000502C: D3F300C8 1F2271C0
	v_mfma_f32_16x16x32_fp8_fp8 v[200:203], a[194:195], a[58:59], v[200:203]// 000000005034: D3F300C8 1F2275C2
	v_mfma_f32_16x16x32_fp8_fp8 v[200:203], a[196:197], a[60:61], v[200:203]// 00000000503C: D3F300C8 1F2279C4
	v_mfma_f32_16x16x32_fp8_fp8 v[200:203], a[198:199], a[62:63], v[200:203]// 000000005044: D3F300C8 1F227DC6
	v_mfma_f32_16x16x32_fp8_fp8 v[240:243], a[200:201], a[56:57], v[240:243]// 00000000504C: D3F300F0 1FC271C8
	v_mfma_f32_16x16x32_fp8_fp8 v[240:243], a[202:203], a[58:59], v[240:243]// 000000005054: D3F300F0 1FC275CA
	v_mfma_f32_16x16x32_fp8_fp8 v[240:243], a[204:205], a[60:61], v[240:243]// 00000000505C: D3F300F0 1FC279CC
	v_mfma_f32_16x16x32_fp8_fp8 v[240:243], a[206:207], a[62:63], v[240:243]// 000000005064: D3F300F0 1FC27DCE
	v_mfma_f32_16x16x32_fp8_fp8 v[204:207], a[192:193], a[64:65], v[204:207]// 00000000506C: D3F300CC 1F3281C0
	v_mfma_f32_16x16x32_fp8_fp8 v[204:207], a[194:195], a[66:67], v[204:207]// 000000005074: D3F300CC 1F3285C2
	v_mfma_f32_16x16x32_fp8_fp8 v[204:207], a[196:197], a[68:69], v[204:207]// 00000000507C: D3F300CC 1F3289C4
	v_mfma_f32_16x16x32_fp8_fp8 v[204:207], a[198:199], a[70:71], v[204:207]// 000000005084: D3F300CC 1F328DC6
	v_mfma_f32_16x16x32_fp8_fp8 v[244:247], a[200:201], a[64:65], v[244:247]// 00000000508C: D3F300F4 1FD281C8
	v_mfma_f32_16x16x32_fp8_fp8 v[244:247], a[202:203], a[66:67], v[244:247]// 000000005094: D3F300F4 1FD285CA
	v_mfma_f32_16x16x32_fp8_fp8 v[244:247], a[204:205], a[68:69], v[244:247]// 00000000509C: D3F300F4 1FD289CC
	v_mfma_f32_16x16x32_fp8_fp8 v[244:247], a[206:207], a[70:71], v[244:247]// 0000000050A4: D3F300F4 1FD28DCE
	v_mfma_f32_16x16x32_fp8_fp8 v[208:211], a[192:193], a[72:73], v[208:211]// 0000000050AC: D3F300D0 1F4291C0
	s_add_u32 s60, 0x180, s80                                  // 0000000050B4: 803C50FF 00000180
	s_cmp_lt_u32 s60, s81                                      // 0000000050BC: BF0A513C
	s_cselect_b32 s57, s57, 0                                  // 0000000050C0: 85398039
	v_mfma_f32_16x16x32_fp8_fp8 v[208:211], a[194:195], a[74:75], v[208:211]// 0000000050C4: D3F300D0 1F4295C2
	s_add_u32 s60, 0x100, s80                                  // 0000000050CC: 803C50FF 00000100
	s_cmp_lt_u32 s60, s81                                      // 0000000050D4: BF0A513C
	s_cselect_b32 s58, s58, 0                                  // 0000000050D8: 853A803A
	v_mfma_f32_16x16x32_fp8_fp8 v[208:211], a[196:197], a[76:77], v[208:211]// 0000000050DC: D3F300D0 1F4299C4
	s_add_u32 s60, 0x100, s80                                  // 0000000050E4: 803C50FF 00000100
	s_cmp_lt_u32 s60, s81                                      // 0000000050EC: BF0A513C
	s_cselect_b32 s83, s83, 0                                  // 0000000050F0: 85538053
	v_mfma_f32_16x16x32_fp8_fp8 v[208:211], a[198:199], a[78:79], v[208:211]// 0000000050F4: D3F300D0 1F429DC6
	s_add_u32 s24, s58, s24                                    // 0000000050FC: 8018183A
	s_addc_u32 s25, 0, s25                                     // 000000005100: 82191980
	v_mfma_f32_16x16x32_fp8_fp8 v[248:251], a[200:201], a[72:73], v[248:251]// 000000005104: D3F300F8 1FE291C8
	s_add_u32 s20, s57, s20                                    // 00000000510C: 80141439
	s_addc_u32 s21, 0, s21                                     // 000000005110: 82151580
	v_mfma_f32_16x16x32_fp8_fp8 v[248:251], a[202:203], a[74:75], v[248:251]// 000000005114: D3F300F8 1FE295CA
	s_add_u32 s84, s83, s84                                    // 00000000511C: 80545453
	s_addc_u32 s85, 0, s85                                     // 000000005120: 82555580
	v_mfma_f32_16x16x32_fp8_fp8 v[248:251], a[204:205], a[76:77], v[248:251]// 000000005124: D3F300F8 1FE299CC
	v_mfma_f32_16x16x32_fp8_fp8 v[248:251], a[206:207], a[78:79], v[248:251]// 00000000512C: D3F300F8 1FE29DCE
	s_addk_i32 s80, 0x80                                       // 000000005134: B7500080
	s_cmp_lt_i32 s80, s81                                      // 000000005138: BF045150
	s_cbranch_scc0 label_0F6E                                  // 00000000513C: BF84059E
	s_waitcnt vmcnt(24) lgkmcnt(0)                             // 000000005140: BF8C4078
	v_mfma_f32_16x16x32_fp8_fp8 v[92:95], a[160:161], a[80:81], v[92:95]// 000000005144: D3F3005C 1D72A1A0
	v_mfma_f32_16x16x32_fp8_fp8 v[92:95], a[162:163], a[82:83], v[92:95]// 00000000514C: D3F3005C 1D72A5A2
	buffer_load_dwordx4 a[192:195], v90, s[24:27], 0 offen     // 000000005154: E05C1000 8086C05A
	v_mfma_f32_16x16x32_fp8_fp8 v[92:95], a[164:165], a[84:85], v[92:95]// 00000000515C: D3F3005C 1D72A9A4
	v_mfma_f32_16x16x32_fp8_fp8 v[92:95], a[166:167], a[86:87], v[92:95]// 000000005164: D3F3005C 1D72ADA6
	v_mfma_f32_16x16x32_fp8_fp8 v[132:135], a[168:169], a[80:81], v[132:135]// 00000000516C: D3F30084 1E12A1A8
	v_mfma_f32_16x16x32_fp8_fp8 v[132:135], a[170:171], a[82:83], v[132:135]// 000000005174: D3F30084 1E12A5AA
	buffer_load_dwordx4 a[196:199], v90, s[24:27], 0 offen offset:1024// 00000000517C: E05C1400 8086C45A
	v_mfma_f32_16x16x32_fp8_fp8 v[132:135], a[172:173], a[84:85], v[132:135]// 000000005184: D3F30084 1E12A9AC
	v_mfma_f32_16x16x32_fp8_fp8 v[132:135], a[174:175], a[86:87], v[132:135]// 00000000518C: D3F30084 1E12ADAE
	v_mfma_f32_16x16x32_fp8_fp8 v[96:99], a[160:161], a[88:89], v[96:99]// 000000005194: D3F30060 1D82B1A0
	v_mfma_f32_16x16x32_fp8_fp8 v[96:99], a[162:163], a[90:91], v[96:99]// 00000000519C: D3F30060 1D82B5A2
	buffer_load_dwordx4 a[200:203], v91, s[24:27], 0 offen     // 0000000051A4: E05C1000 8086C85B
	v_mfma_f32_16x16x32_fp8_fp8 v[96:99], a[164:165], a[92:93], v[96:99]// 0000000051AC: D3F30060 1D82B9A4
	v_mfma_f32_16x16x32_fp8_fp8 v[96:99], a[166:167], a[94:95], v[96:99]// 0000000051B4: D3F30060 1D82BDA6
	v_mfma_f32_16x16x32_fp8_fp8 v[136:139], a[168:169], a[88:89], v[136:139]// 0000000051BC: D3F30088 1E22B1A8
	v_mfma_f32_16x16x32_fp8_fp8 v[136:139], a[170:171], a[90:91], v[136:139]// 0000000051C4: D3F30088 1E22B5AA
	buffer_load_dwordx4 a[204:207], v91, s[24:27], 0 offen offset:1024// 0000000051CC: E05C1400 8086CC5B
	buffer_load_dword v70, s[20:23], 0 offen lds               // 0000000051D4: E0511000 80050046
	s_add_u32 m0, 0x100, s50                                   // 0000000051DC: 807C32FF 00000100
	v_mfma_f32_16x16x32_fp8_fp8 v[136:139], a[172:173], a[92:93], v[136:139]// 0000000051E4: D3F30088 1E22B9AC
	v_mfma_f32_16x16x32_fp8_fp8 v[136:139], a[174:175], a[94:95], v[136:139]// 0000000051EC: D3F30088 1E22BDAE
	buffer_load_dword v71, s[20:23], 0 offen lds               // 0000000051F4: E0511000 80050047
	s_add_u32 m0, 0x200, s50                                   // 0000000051FC: 807C32FF 00000200
	v_mfma_f32_16x16x32_fp8_fp8 v[100:103], a[160:161], a[96:97], v[100:103]// 000000005204: D3F30064 1D92C1A0
	v_mfma_f32_16x16x32_fp8_fp8 v[100:103], a[162:163], a[98:99], v[100:103]// 00000000520C: D3F30064 1D92C5A2
	buffer_load_dword v72, s[20:23], 0 offen lds               // 000000005214: E0511000 80050048
	s_add_u32 m0, 0x300, s50                                   // 00000000521C: 807C32FF 00000300
	v_mfma_f32_16x16x32_fp8_fp8 v[100:103], a[164:165], a[100:101], v[100:103]// 000000005224: D3F30064 1D92C9A4
	v_mfma_f32_16x16x32_fp8_fp8 v[100:103], a[166:167], a[102:103], v[100:103]// 00000000522C: D3F30064 1D92CDA6
	buffer_load_dword v73, s[20:23], 0 offen lds               // 000000005234: E0511000 80050049
	s_add_u32 m0, 0x400, s50                                   // 00000000523C: 807C32FF 00000400
	v_mfma_f32_16x16x32_fp8_fp8 v[140:143], a[168:169], a[96:97], v[140:143]// 000000005244: D3F3008C 1E32C1A8
	v_mfma_f32_16x16x32_fp8_fp8 v[140:143], a[170:171], a[98:99], v[140:143]// 00000000524C: D3F3008C 1E32C5AA
	buffer_load_dword v74, s[20:23], 0 offen lds               // 000000005254: E0511000 8005004A
	s_add_u32 m0, 0x500, s50                                   // 00000000525C: 807C32FF 00000500
	v_mfma_f32_16x16x32_fp8_fp8 v[140:143], a[172:173], a[100:101], v[140:143]// 000000005264: D3F3008C 1E32C9AC
	v_mfma_f32_16x16x32_fp8_fp8 v[140:143], a[174:175], a[102:103], v[140:143]// 00000000526C: D3F3008C 1E32CDAE
	buffer_load_dword v75, s[20:23], 0 offen lds               // 000000005274: E0511000 8005004B
	s_add_u32 m0, 0x600, s50                                   // 00000000527C: 807C32FF 00000600
	v_mfma_f32_16x16x32_fp8_fp8 v[104:107], a[160:161], a[104:105], v[104:107]// 000000005284: D3F30068 1DA2D1A0
	v_mfma_f32_16x16x32_fp8_fp8 v[104:107], a[162:163], a[106:107], v[104:107]// 00000000528C: D3F30068 1DA2D5A2
	buffer_load_dword v76, s[20:23], 0 offen lds               // 000000005294: E0511000 8005004C
	s_add_u32 m0, 0x700, s50                                   // 00000000529C: 807C32FF 00000700
	v_mfma_f32_16x16x32_fp8_fp8 v[104:107], a[164:165], a[108:109], v[104:107]// 0000000052A4: D3F30068 1DA2D9A4
	v_mfma_f32_16x16x32_fp8_fp8 v[104:107], a[166:167], a[110:111], v[104:107]// 0000000052AC: D3F30068 1DA2DDA6
	buffer_load_dword v77, s[20:23], 0 offen lds               // 0000000052B4: E0511000 8005004D
	s_add_u32 m0, 0x800, s50                                   // 0000000052BC: 807C32FF 00000800
	v_mfma_f32_16x16x32_fp8_fp8 v[144:147], a[168:169], a[104:105], v[144:147]// 0000000052C4: D3F30090 1E42D1A8
	v_mfma_f32_16x16x32_fp8_fp8 v[144:147], a[170:171], a[106:107], v[144:147]// 0000000052CC: D3F30090 1E42D5AA
	buffer_load_dword v78, s[20:23], 0 offen lds               // 0000000052D4: E0511000 8005004E
	s_add_u32 m0, 0x900, s50                                   // 0000000052DC: 807C32FF 00000900
	v_mfma_f32_16x16x32_fp8_fp8 v[144:147], a[172:173], a[108:109], v[144:147]// 0000000052E4: D3F30090 1E42D9AC
	v_mfma_f32_16x16x32_fp8_fp8 v[144:147], a[174:175], a[110:111], v[144:147]// 0000000052EC: D3F30090 1E42DDAE
	buffer_load_dword v79, s[20:23], 0 offen lds               // 0000000052F4: E0511000 8005004F
	s_add_u32 m0, 0xa00, s50                                   // 0000000052FC: 807C32FF 00000A00
	v_mfma_f32_16x16x32_fp8_fp8 v[108:111], a[160:161], a[112:113], v[108:111]// 000000005304: D3F3006C 1DB2E1A0
	v_mfma_f32_16x16x32_fp8_fp8 v[108:111], a[162:163], a[114:115], v[108:111]// 00000000530C: D3F3006C 1DB2E5A2
	buffer_load_dword v80, s[20:23], 0 offen lds               // 000000005314: E0511000 80050050
	s_add_u32 m0, 0xb00, s50                                   // 00000000531C: 807C32FF 00000B00
	v_mfma_f32_16x16x32_fp8_fp8 v[108:111], a[164:165], a[116:117], v[108:111]// 000000005324: D3F3006C 1DB2E9A4
	v_mfma_f32_16x16x32_fp8_fp8 v[108:111], a[166:167], a[118:119], v[108:111]// 00000000532C: D3F3006C 1DB2EDA6
	buffer_load_dword v81, s[20:23], 0 offen lds               // 000000005334: E0511000 80050051
	s_add_u32 m0, 0xc00, s50                                   // 00000000533C: 807C32FF 00000C00
	v_mfma_f32_16x16x32_fp8_fp8 v[148:151], a[168:169], a[112:113], v[148:151]// 000000005344: D3F30094 1E52E1A8
	v_mfma_f32_16x16x32_fp8_fp8 v[148:151], a[170:171], a[114:115], v[148:151]// 00000000534C: D3F30094 1E52E5AA
	buffer_load_dword v82, s[20:23], 0 offen lds               // 000000005354: E0511000 80050052
	s_add_u32 m0, 0xd00, s50                                   // 00000000535C: 807C32FF 00000D00
	v_mfma_f32_16x16x32_fp8_fp8 v[148:151], a[172:173], a[116:117], v[148:151]// 000000005364: D3F30094 1E52E9AC
	v_mfma_f32_16x16x32_fp8_fp8 v[148:151], a[174:175], a[118:119], v[148:151]// 00000000536C: D3F30094 1E52EDAE
	buffer_load_dword v83, s[20:23], 0 offen lds               // 000000005374: E0511000 80050053
	s_add_u32 m0, 0xe00, s50                                   // 00000000537C: 807C32FF 00000E00
	v_mfma_f32_16x16x32_fp8_fp8 v[112:115], a[160:161], a[120:121], v[112:115]// 000000005384: D3F30070 1DC2F1A0
	v_mfma_f32_16x16x32_fp8_fp8 v[112:115], a[162:163], a[122:123], v[112:115]// 00000000538C: D3F30070 1DC2F5A2
	buffer_load_dword v84, s[20:23], 0 offen lds               // 000000005394: E0511000 80050054
	s_add_u32 m0, 0xf00, s50                                   // 00000000539C: 807C32FF 00000F00
	v_mfma_f32_16x16x32_fp8_fp8 v[112:115], a[164:165], a[124:125], v[112:115]// 0000000053A4: D3F30070 1DC2F9A4
	v_mfma_f32_16x16x32_fp8_fp8 v[112:115], a[166:167], a[126:127], v[112:115]// 0000000053AC: D3F30070 1DC2FDA6
	buffer_load_dword v85, s[20:23], 0 offen lds               // 0000000053B4: E0511000 80050055
	s_add_u32 m0, 0x1000, s50                                  // 0000000053BC: 807C32FF 00001000
	v_mfma_f32_16x16x32_fp8_fp8 v[152:155], a[168:169], a[120:121], v[152:155]// 0000000053C4: D3F30098 1E62F1A8
	v_mfma_f32_16x16x32_fp8_fp8 v[152:155], a[170:171], a[122:123], v[152:155]// 0000000053CC: D3F30098 1E62F5AA
	buffer_load_dword v86, s[20:23], 0 offen lds               // 0000000053D4: E0511000 80050056
	s_add_u32 m0, 0x1100, s50                                  // 0000000053DC: 807C32FF 00001100
	v_mfma_f32_16x16x32_fp8_fp8 v[152:155], a[172:173], a[124:125], v[152:155]// 0000000053E4: D3F30098 1E62F9AC
	v_mfma_f32_16x16x32_fp8_fp8 v[152:155], a[174:175], a[126:127], v[152:155]// 0000000053EC: D3F30098 1E62FDAE
	buffer_load_dword v87, s[20:23], 0 offen lds               // 0000000053F4: E0511000 80050057
	s_add_u32 m0, 0x1200, s50                                  // 0000000053FC: 807C32FF 00001200
	v_mfma_f32_16x16x32_fp8_fp8 v[116:119], a[160:161], a[128:129], v[116:119]// 000000005404: D3F30074 1DD301A0
	v_mfma_f32_16x16x32_fp8_fp8 v[116:119], a[162:163], a[130:131], v[116:119]// 00000000540C: D3F30074 1DD305A2
	buffer_load_dword v88, s[20:23], 0 offen lds               // 000000005414: E0511000 80050058
	s_add_u32 m0, 0x1300, s50                                  // 00000000541C: 807C32FF 00001300
	v_mfma_f32_16x16x32_fp8_fp8 v[116:119], a[164:165], a[132:133], v[116:119]// 000000005424: D3F30074 1DD309A4
	v_mfma_f32_16x16x32_fp8_fp8 v[116:119], a[166:167], a[134:135], v[116:119]// 00000000542C: D3F30074 1DD30DA6
	buffer_load_dword v89, s[20:23], 0 offen lds               // 000000005434: E0511000 80050059
	s_add_u32 m0, 0, s48                                       // 00000000543C: 807C3080
	v_mfma_f32_16x16x32_fp8_fp8 v[156:159], a[168:169], a[128:129], v[156:159]// 000000005440: D3F3009C 1E7301A8
	v_mfma_f32_16x16x32_fp8_fp8 v[156:159], a[170:171], a[130:131], v[156:159]// 000000005448: D3F3009C 1E7305AA
	v_mfma_f32_16x16x32_fp8_fp8 v[156:159], a[172:173], a[132:133], v[156:159]// 000000005450: D3F3009C 1E7309AC
	v_mfma_f32_16x16x32_fp8_fp8 v[156:159], a[174:175], a[134:135], v[156:159]// 000000005458: D3F3009C 1E730DAE
	v_mfma_f32_16x16x32_fp8_fp8 v[120:123], a[160:161], a[136:137], v[120:123]// 000000005460: D3F30078 1DE311A0
	v_mfma_f32_16x16x32_fp8_fp8 v[120:123], a[162:163], a[138:139], v[120:123]// 000000005468: D3F30078 1DE315A2
	v_mfma_f32_16x16x32_fp8_fp8 v[120:123], a[164:165], a[140:141], v[120:123]// 000000005470: D3F30078 1DE319A4
	v_mfma_f32_16x16x32_fp8_fp8 v[120:123], a[166:167], a[142:143], v[120:123]// 000000005478: D3F30078 1DE31DA6
	v_mfma_f32_16x16x32_fp8_fp8 v[160:163], a[168:169], a[136:137], v[160:163]// 000000005480: D3F300A0 1E8311A8
	v_mfma_f32_16x16x32_fp8_fp8 v[160:163], a[170:171], a[138:139], v[160:163]// 000000005488: D3F300A0 1E8315AA
	v_mfma_f32_16x16x32_fp8_fp8 v[160:163], a[172:173], a[140:141], v[160:163]// 000000005490: D3F300A0 1E8319AC
	v_mfma_f32_16x16x32_fp8_fp8 v[160:163], a[174:175], a[142:143], v[160:163]// 000000005498: D3F300A0 1E831DAE
	v_mfma_f32_16x16x32_fp8_fp8 v[124:127], a[160:161], a[144:145], v[124:127]// 0000000054A0: D3F3007C 1DF321A0
	v_mfma_f32_16x16x32_fp8_fp8 v[124:127], a[162:163], a[146:147], v[124:127]// 0000000054A8: D3F3007C 1DF325A2
	v_mfma_f32_16x16x32_fp8_fp8 v[124:127], a[164:165], a[148:149], v[124:127]// 0000000054B0: D3F3007C 1DF329A4
	v_mfma_f32_16x16x32_fp8_fp8 v[124:127], a[166:167], a[150:151], v[124:127]// 0000000054B8: D3F3007C 1DF32DA6
	v_mfma_f32_16x16x32_fp8_fp8 v[164:167], a[168:169], a[144:145], v[164:167]// 0000000054C0: D3F300A4 1E9321A8
	v_mfma_f32_16x16x32_fp8_fp8 v[164:167], a[170:171], a[146:147], v[164:167]// 0000000054C8: D3F300A4 1E9325AA
	v_mfma_f32_16x16x32_fp8_fp8 v[164:167], a[172:173], a[148:149], v[164:167]// 0000000054D0: D3F300A4 1E9329AC
	v_mfma_f32_16x16x32_fp8_fp8 v[164:167], a[174:175], a[150:151], v[164:167]// 0000000054D8: D3F300A4 1E932DAE
	v_mfma_f32_16x16x32_fp8_fp8 v[128:131], a[160:161], a[152:153], v[128:131]// 0000000054E0: D3F30080 1E0331A0
	v_mfma_f32_16x16x32_fp8_fp8 v[128:131], a[162:163], a[154:155], v[128:131]// 0000000054E8: D3F30080 1E0335A2
	v_mfma_f32_16x16x32_fp8_fp8 v[128:131], a[164:165], a[156:157], v[128:131]// 0000000054F0: D3F30080 1E0339A4
	v_mfma_f32_16x16x32_fp8_fp8 v[128:131], a[166:167], a[158:159], v[128:131]// 0000000054F8: D3F30080 1E033DA6
	v_mfma_f32_16x16x32_fp8_fp8 v[168:171], a[168:169], a[152:153], v[168:171]// 000000005500: D3F300A8 1EA331A8
	v_mfma_f32_16x16x32_fp8_fp8 v[168:171], a[170:171], a[154:155], v[168:171]// 000000005508: D3F300A8 1EA335AA
	v_mfma_f32_16x16x32_fp8_fp8 v[168:171], a[172:173], a[156:157], v[168:171]// 000000005510: D3F300A8 1EA339AC
	v_mfma_f32_16x16x32_fp8_fp8 v[168:171], a[174:175], a[158:159], v[168:171]// 000000005518: D3F300A8 1EA33DAE
	s_waitcnt vmcnt(24)                                        // 000000005520: BF8C4F78
	s_barrier                                                  // 000000005524: BF8A0000
	v_mfma_f32_16x16x32_fp8_fp8 v[172:175], a[176:177], a[80:81], v[172:175]// 000000005528: D3F300AC 1EB2A1B0
	v_mfma_f32_16x16x32_fp8_fp8 v[172:175], a[178:179], a[82:83], v[172:175]// 000000005530: D3F300AC 1EB2A5B2
	buffer_load_dwordx4 a[160:163], v90, s[84:87], 0 offen     // 000000005538: E05C1000 8095A05A
	v_mfma_f32_16x16x32_fp8_fp8 v[172:175], a[180:181], a[84:85], v[172:175]// 000000005540: D3F300AC 1EB2A9B4
	v_mfma_f32_16x16x32_fp8_fp8 v[172:175], a[182:183], a[86:87], v[172:175]// 000000005548: D3F300AC 1EB2ADB6
	ds_read_b128 a[0:3], v2 offset:20608                       // 000000005550: DBFE5080 00000002
	ds_read_b128 a[4:7], v2 offset:20672                       // 000000005558: DBFE50C0 04000002
	v_mfma_f32_16x16x32_fp8_fp8 v[212:215], a[184:185], a[80:81], v[212:215]// 000000005560: D3F300D4 1F52A1B8
	v_mfma_f32_16x16x32_fp8_fp8 v[212:215], a[186:187], a[82:83], v[212:215]// 000000005568: D3F300D4 1F52A5BA
	buffer_load_dwordx4 a[164:167], v90, s[84:87], 0 offen offset:1024// 000000005570: E05C1400 8095A45A
	v_mfma_f32_16x16x32_fp8_fp8 v[212:215], a[188:189], a[84:85], v[212:215]// 000000005578: D3F300D4 1F52A9BC
	v_mfma_f32_16x16x32_fp8_fp8 v[212:215], a[190:191], a[86:87], v[212:215]// 000000005580: D3F300D4 1F52ADBE
	ds_read_b128 a[8:11], v2 offset:21120                      // 000000005588: DBFE5280 08000002
	ds_read_b128 a[12:15], v2 offset:21184                     // 000000005590: DBFE52C0 0C000002
	v_mfma_f32_16x16x32_fp8_fp8 v[176:179], a[176:177], a[88:89], v[176:179]// 000000005598: D3F300B0 1EC2B1B0
	v_mfma_f32_16x16x32_fp8_fp8 v[176:179], a[178:179], a[90:91], v[176:179]// 0000000055A0: D3F300B0 1EC2B5B2
	buffer_load_dwordx4 a[168:171], v91, s[84:87], 0 offen     // 0000000055A8: E05C1000 8095A85B
	v_mfma_f32_16x16x32_fp8_fp8 v[176:179], a[180:181], a[92:93], v[176:179]// 0000000055B0: D3F300B0 1EC2B9B4
	v_mfma_f32_16x16x32_fp8_fp8 v[176:179], a[182:183], a[94:95], v[176:179]// 0000000055B8: D3F300B0 1EC2BDB6
	ds_read_b128 a[16:19], v2 offset:21632                     // 0000000055C0: DBFE5480 10000002
	ds_read_b128 a[20:23], v2 offset:21696                     // 0000000055C8: DBFE54C0 14000002
	v_mfma_f32_16x16x32_fp8_fp8 v[216:219], a[184:185], a[88:89], v[216:219]// 0000000055D0: D3F300D8 1F62B1B8
	v_mfma_f32_16x16x32_fp8_fp8 v[216:219], a[186:187], a[90:91], v[216:219]// 0000000055D8: D3F300D8 1F62B5BA
	buffer_load_dwordx4 a[172:175], v91, s[84:87], 0 offen offset:1024// 0000000055E0: E05C1400 8095AC5B
	v_mfma_f32_16x16x32_fp8_fp8 v[216:219], a[188:189], a[92:93], v[216:219]// 0000000055E8: D3F300D8 1F62B9BC
	v_mfma_f32_16x16x32_fp8_fp8 v[216:219], a[190:191], a[94:95], v[216:219]// 0000000055F0: D3F300D8 1F62BDBE
	ds_read_b128 a[24:27], v2 offset:22144                     // 0000000055F8: DBFE5680 18000002
	ds_read_b128 a[28:31], v2 offset:22208                     // 000000005600: DBFE56C0 1C000002
	v_mfma_f32_16x16x32_fp8_fp8 v[180:183], a[176:177], a[96:97], v[180:183]// 000000005608: D3F300B4 1ED2C1B0
	v_mfma_f32_16x16x32_fp8_fp8 v[180:183], a[178:179], a[98:99], v[180:183]// 000000005610: D3F300B4 1ED2C5B2
	v_mfma_f32_16x16x32_fp8_fp8 v[180:183], a[180:181], a[100:101], v[180:183]// 000000005618: D3F300B4 1ED2C9B4
	v_mfma_f32_16x16x32_fp8_fp8 v[180:183], a[182:183], a[102:103], v[180:183]// 000000005620: D3F300B4 1ED2CDB6
	ds_read_b128 a[32:35], v2 offset:22656                     // 000000005628: DBFE5880 20000002
	ds_read_b128 a[36:39], v2 offset:22720                     // 000000005630: DBFE58C0 24000002
	v_mfma_f32_16x16x32_fp8_fp8 v[220:223], a[184:185], a[96:97], v[220:223]// 000000005638: D3F300DC 1F72C1B8
	v_mfma_f32_16x16x32_fp8_fp8 v[220:223], a[186:187], a[98:99], v[220:223]// 000000005640: D3F300DC 1F72C5BA
	v_mfma_f32_16x16x32_fp8_fp8 v[220:223], a[188:189], a[100:101], v[220:223]// 000000005648: D3F300DC 1F72C9BC
	v_mfma_f32_16x16x32_fp8_fp8 v[220:223], a[190:191], a[102:103], v[220:223]// 000000005650: D3F300DC 1F72CDBE
	ds_read_b128 a[40:43], v2 offset:23168                     // 000000005658: DBFE5A80 28000002
	ds_read_b128 a[44:47], v2 offset:23232                     // 000000005660: DBFE5AC0 2C000002
	v_mfma_f32_16x16x32_fp8_fp8 v[184:187], a[176:177], a[104:105], v[184:187]// 000000005668: D3F300B8 1EE2D1B0
	v_mfma_f32_16x16x32_fp8_fp8 v[184:187], a[178:179], a[106:107], v[184:187]// 000000005670: D3F300B8 1EE2D5B2
	v_mfma_f32_16x16x32_fp8_fp8 v[184:187], a[180:181], a[108:109], v[184:187]// 000000005678: D3F300B8 1EE2D9B4
	v_mfma_f32_16x16x32_fp8_fp8 v[184:187], a[182:183], a[110:111], v[184:187]// 000000005680: D3F300B8 1EE2DDB6
	ds_read_b128 a[48:51], v2 offset:23680                     // 000000005688: DBFE5C80 30000002
	ds_read_b128 a[52:55], v2 offset:23744                     // 000000005690: DBFE5CC0 34000002
	v_mfma_f32_16x16x32_fp8_fp8 v[224:227], a[184:185], a[104:105], v[224:227]// 000000005698: D3F300E0 1F82D1B8
	v_mfma_f32_16x16x32_fp8_fp8 v[224:227], a[186:187], a[106:107], v[224:227]// 0000000056A0: D3F300E0 1F82D5BA
	v_mfma_f32_16x16x32_fp8_fp8 v[224:227], a[188:189], a[108:109], v[224:227]// 0000000056A8: D3F300E0 1F82D9BC
	v_mfma_f32_16x16x32_fp8_fp8 v[224:227], a[190:191], a[110:111], v[224:227]// 0000000056B0: D3F300E0 1F82DDBE
	ds_read_b128 a[56:59], v2 offset:24192                     // 0000000056B8: DBFE5E80 38000002
	ds_read_b128 a[60:63], v2 offset:24256                     // 0000000056C0: DBFE5EC0 3C000002
	v_mfma_f32_16x16x32_fp8_fp8 v[188:191], a[176:177], a[112:113], v[188:191]// 0000000056C8: D3F300BC 1EF2E1B0
	v_mfma_f32_16x16x32_fp8_fp8 v[188:191], a[178:179], a[114:115], v[188:191]// 0000000056D0: D3F300BC 1EF2E5B2
	v_mfma_f32_16x16x32_fp8_fp8 v[188:191], a[180:181], a[116:117], v[188:191]// 0000000056D8: D3F300BC 1EF2E9B4
	v_mfma_f32_16x16x32_fp8_fp8 v[188:191], a[182:183], a[118:119], v[188:191]// 0000000056E0: D3F300BC 1EF2EDB6
	ds_read_b128 a[64:67], v2 offset:24704                     // 0000000056E8: DBFE6080 40000002
	ds_read_b128 a[68:71], v2 offset:24768                     // 0000000056F0: DBFE60C0 44000002
	v_mfma_f32_16x16x32_fp8_fp8 v[228:231], a[184:185], a[112:113], v[228:231]// 0000000056F8: D3F300E4 1F92E1B8
	v_mfma_f32_16x16x32_fp8_fp8 v[228:231], a[186:187], a[114:115], v[228:231]// 000000005700: D3F300E4 1F92E5BA
	v_mfma_f32_16x16x32_fp8_fp8 v[228:231], a[188:189], a[116:117], v[228:231]// 000000005708: D3F300E4 1F92E9BC
	v_mfma_f32_16x16x32_fp8_fp8 v[228:231], a[190:191], a[118:119], v[228:231]// 000000005710: D3F300E4 1F92EDBE
	ds_read_b128 a[72:75], v2 offset:25216                     // 000000005718: DBFE6280 48000002
	ds_read_b128 a[76:79], v2 offset:25280                     // 000000005720: DBFE62C0 4C000002
	v_mfma_f32_16x16x32_fp8_fp8 v[192:195], a[176:177], a[120:121], v[192:195]// 000000005728: D3F300C0 1F02F1B0
	v_mfma_f32_16x16x32_fp8_fp8 v[192:195], a[178:179], a[122:123], v[192:195]// 000000005730: D3F300C0 1F02F5B2
	v_mfma_f32_16x16x32_fp8_fp8 v[192:195], a[180:181], a[124:125], v[192:195]// 000000005738: D3F300C0 1F02F9B4
	v_mfma_f32_16x16x32_fp8_fp8 v[192:195], a[182:183], a[126:127], v[192:195]// 000000005740: D3F300C0 1F02FDB6
	v_mfma_f32_16x16x32_fp8_fp8 v[232:235], a[184:185], a[120:121], v[232:235]// 000000005748: D3F300E8 1FA2F1B8
	v_mfma_f32_16x16x32_fp8_fp8 v[232:235], a[186:187], a[122:123], v[232:235]// 000000005750: D3F300E8 1FA2F5BA
	v_mfma_f32_16x16x32_fp8_fp8 v[232:235], a[188:189], a[124:125], v[232:235]// 000000005758: D3F300E8 1FA2F9BC
	v_mfma_f32_16x16x32_fp8_fp8 v[232:235], a[190:191], a[126:127], v[232:235]// 000000005760: D3F300E8 1FA2FDBE
	v_mfma_f32_16x16x32_fp8_fp8 v[196:199], a[176:177], a[128:129], v[196:199]// 000000005768: D3F300C4 1F1301B0
	v_mfma_f32_16x16x32_fp8_fp8 v[196:199], a[178:179], a[130:131], v[196:199]// 000000005770: D3F300C4 1F1305B2
	v_mfma_f32_16x16x32_fp8_fp8 v[196:199], a[180:181], a[132:133], v[196:199]// 000000005778: D3F300C4 1F1309B4
	v_mfma_f32_16x16x32_fp8_fp8 v[196:199], a[182:183], a[134:135], v[196:199]// 000000005780: D3F300C4 1F130DB6
	v_mfma_f32_16x16x32_fp8_fp8 v[236:239], a[184:185], a[128:129], v[236:239]// 000000005788: D3F300EC 1FB301B8
	v_mfma_f32_16x16x32_fp8_fp8 v[236:239], a[186:187], a[130:131], v[236:239]// 000000005790: D3F300EC 1FB305BA
	v_mfma_f32_16x16x32_fp8_fp8 v[236:239], a[188:189], a[132:133], v[236:239]// 000000005798: D3F300EC 1FB309BC
	v_mfma_f32_16x16x32_fp8_fp8 v[236:239], a[190:191], a[134:135], v[236:239]// 0000000057A0: D3F300EC 1FB30DBE
	v_mfma_f32_16x16x32_fp8_fp8 v[200:203], a[176:177], a[136:137], v[200:203]// 0000000057A8: D3F300C8 1F2311B0
	v_mfma_f32_16x16x32_fp8_fp8 v[200:203], a[178:179], a[138:139], v[200:203]// 0000000057B0: D3F300C8 1F2315B2
	v_mfma_f32_16x16x32_fp8_fp8 v[200:203], a[180:181], a[140:141], v[200:203]// 0000000057B8: D3F300C8 1F2319B4
	v_mfma_f32_16x16x32_fp8_fp8 v[200:203], a[182:183], a[142:143], v[200:203]// 0000000057C0: D3F300C8 1F231DB6
	v_mfma_f32_16x16x32_fp8_fp8 v[240:243], a[184:185], a[136:137], v[240:243]// 0000000057C8: D3F300F0 1FC311B8
	v_mfma_f32_16x16x32_fp8_fp8 v[240:243], a[186:187], a[138:139], v[240:243]// 0000000057D0: D3F300F0 1FC315BA
	v_mfma_f32_16x16x32_fp8_fp8 v[240:243], a[188:189], a[140:141], v[240:243]// 0000000057D8: D3F300F0 1FC319BC
	v_mfma_f32_16x16x32_fp8_fp8 v[240:243], a[190:191], a[142:143], v[240:243]// 0000000057E0: D3F300F0 1FC31DBE
	v_mfma_f32_16x16x32_fp8_fp8 v[204:207], a[176:177], a[144:145], v[204:207]// 0000000057E8: D3F300CC 1F3321B0
	v_mfma_f32_16x16x32_fp8_fp8 v[204:207], a[178:179], a[146:147], v[204:207]// 0000000057F0: D3F300CC 1F3325B2
	v_mfma_f32_16x16x32_fp8_fp8 v[204:207], a[180:181], a[148:149], v[204:207]// 0000000057F8: D3F300CC 1F3329B4
	v_mfma_f32_16x16x32_fp8_fp8 v[204:207], a[182:183], a[150:151], v[204:207]// 000000005800: D3F300CC 1F332DB6
	v_mfma_f32_16x16x32_fp8_fp8 v[244:247], a[184:185], a[144:145], v[244:247]// 000000005808: D3F300F4 1FD321B8
	v_mfma_f32_16x16x32_fp8_fp8 v[244:247], a[186:187], a[146:147], v[244:247]// 000000005810: D3F300F4 1FD325BA
	v_mfma_f32_16x16x32_fp8_fp8 v[244:247], a[188:189], a[148:149], v[244:247]// 000000005818: D3F300F4 1FD329BC
	v_mfma_f32_16x16x32_fp8_fp8 v[244:247], a[190:191], a[150:151], v[244:247]// 000000005820: D3F300F4 1FD32DBE
	v_mfma_f32_16x16x32_fp8_fp8 v[208:211], a[176:177], a[152:153], v[208:211]// 000000005828: D3F300D0 1F4331B0
	s_add_u32 s60, 0x180, s80                                  // 000000005830: 803C50FF 00000180
	s_cmp_lt_u32 s60, s81                                      // 000000005838: BF0A513C
	s_cselect_b32 s57, s57, 0                                  // 00000000583C: 85398039
	v_mfma_f32_16x16x32_fp8_fp8 v[208:211], a[178:179], a[154:155], v[208:211]// 000000005840: D3F300D0 1F4335B2
	s_add_u32 s60, 0x100, s80                                  // 000000005848: 803C50FF 00000100
	s_cmp_lt_u32 s60, s81                                      // 000000005850: BF0A513C
	s_cselect_b32 s58, s58, 0                                  // 000000005854: 853A803A
	v_mfma_f32_16x16x32_fp8_fp8 v[208:211], a[180:181], a[156:157], v[208:211]// 000000005858: D3F300D0 1F4339B4
	s_add_u32 s60, 0x100, s80                                  // 000000005860: 803C50FF 00000100
	s_cmp_lt_u32 s60, s81                                      // 000000005868: BF0A513C
	s_cselect_b32 s83, s83, 0                                  // 00000000586C: 85538053
	v_mfma_f32_16x16x32_fp8_fp8 v[208:211], a[182:183], a[158:159], v[208:211]// 000000005870: D3F300D0 1F433DB6
	s_add_u32 s24, s58, s24                                    // 000000005878: 8018183A
	s_addc_u32 s25, 0, s25                                     // 00000000587C: 82191980
	v_mfma_f32_16x16x32_fp8_fp8 v[248:251], a[184:185], a[152:153], v[248:251]// 000000005880: D3F300F8 1FE331B8
	s_add_u32 s20, s57, s20                                    // 000000005888: 80141439
	s_addc_u32 s21, 0, s21                                     // 00000000588C: 82151580
	v_mfma_f32_16x16x32_fp8_fp8 v[248:251], a[186:187], a[154:155], v[248:251]// 000000005890: D3F300F8 1FE335BA
	s_add_u32 s84, s83, s84                                    // 000000005898: 80545453
	s_addc_u32 s85, 0, s85                                     // 00000000589C: 82555580
	v_mfma_f32_16x16x32_fp8_fp8 v[248:251], a[188:189], a[156:157], v[248:251]// 0000000058A0: D3F300F8 1FE339BC
	v_mfma_f32_16x16x32_fp8_fp8 v[248:251], a[190:191], a[158:159], v[248:251]// 0000000058A8: D3F300F8 1FE33DBE
	s_addk_i32 s80, 0x80                                       // 0000000058B0: B7500080
	s_cmp_lt_i32 s80, s81                                      // 0000000058B4: BF045150
	s_cbranch_scc0 label_0F6E                                  // 0000000058B8: BF8403BF
	s_waitcnt vmcnt(24) lgkmcnt(0)                             // 0000000058BC: BF8C4078
	v_mfma_f32_16x16x32_fp8_fp8 v[92:95], a[192:193], a[0:1], v[92:95]// 0000000058C0: D3F3005C 1D7201C0
	v_mfma_f32_16x16x32_fp8_fp8 v[92:95], a[194:195], a[2:3], v[92:95]// 0000000058C8: D3F3005C 1D7205C2
	buffer_load_dwordx4 a[176:179], v90, s[24:27], 0 offen     // 0000000058D0: E05C1000 8086B05A
	v_mfma_f32_16x16x32_fp8_fp8 v[92:95], a[196:197], a[4:5], v[92:95]// 0000000058D8: D3F3005C 1D7209C4
	v_mfma_f32_16x16x32_fp8_fp8 v[92:95], a[198:199], a[6:7], v[92:95]// 0000000058E0: D3F3005C 1D720DC6
	v_mfma_f32_16x16x32_fp8_fp8 v[132:135], a[200:201], a[0:1], v[132:135]// 0000000058E8: D3F30084 1E1201C8
	v_mfma_f32_16x16x32_fp8_fp8 v[132:135], a[202:203], a[2:3], v[132:135]// 0000000058F0: D3F30084 1E1205CA
	buffer_load_dwordx4 a[180:183], v90, s[24:27], 0 offen offset:1024// 0000000058F8: E05C1400 8086B45A
	v_mfma_f32_16x16x32_fp8_fp8 v[132:135], a[204:205], a[4:5], v[132:135]// 000000005900: D3F30084 1E1209CC
	v_mfma_f32_16x16x32_fp8_fp8 v[132:135], a[206:207], a[6:7], v[132:135]// 000000005908: D3F30084 1E120DCE
	v_mfma_f32_16x16x32_fp8_fp8 v[96:99], a[192:193], a[8:9], v[96:99]// 000000005910: D3F30060 1D8211C0
	v_mfma_f32_16x16x32_fp8_fp8 v[96:99], a[194:195], a[10:11], v[96:99]// 000000005918: D3F30060 1D8215C2
	buffer_load_dwordx4 a[184:187], v91, s[24:27], 0 offen     // 000000005920: E05C1000 8086B85B
	v_mfma_f32_16x16x32_fp8_fp8 v[96:99], a[196:197], a[12:13], v[96:99]// 000000005928: D3F30060 1D8219C4
	v_mfma_f32_16x16x32_fp8_fp8 v[96:99], a[198:199], a[14:15], v[96:99]// 000000005930: D3F30060 1D821DC6
	v_mfma_f32_16x16x32_fp8_fp8 v[136:139], a[200:201], a[8:9], v[136:139]// 000000005938: D3F30088 1E2211C8
	v_mfma_f32_16x16x32_fp8_fp8 v[136:139], a[202:203], a[10:11], v[136:139]// 000000005940: D3F30088 1E2215CA
	buffer_load_dwordx4 a[188:191], v91, s[24:27], 0 offen offset:1024// 000000005948: E05C1400 8086BC5B
	buffer_load_dword v70, s[20:23], 0 offen lds               // 000000005950: E0511000 80050046
	s_add_u32 m0, 0x100, s48                                   // 000000005958: 807C30FF 00000100
	v_mfma_f32_16x16x32_fp8_fp8 v[136:139], a[204:205], a[12:13], v[136:139]// 000000005960: D3F30088 1E2219CC
	v_mfma_f32_16x16x32_fp8_fp8 v[136:139], a[206:207], a[14:15], v[136:139]// 000000005968: D3F30088 1E221DCE
	buffer_load_dword v71, s[20:23], 0 offen lds               // 000000005970: E0511000 80050047
	s_add_u32 m0, 0x200, s48                                   // 000000005978: 807C30FF 00000200
	v_mfma_f32_16x16x32_fp8_fp8 v[100:103], a[192:193], a[16:17], v[100:103]// 000000005980: D3F30064 1D9221C0
	v_mfma_f32_16x16x32_fp8_fp8 v[100:103], a[194:195], a[18:19], v[100:103]// 000000005988: D3F30064 1D9225C2
	buffer_load_dword v72, s[20:23], 0 offen lds               // 000000005990: E0511000 80050048
	s_add_u32 m0, 0x300, s48                                   // 000000005998: 807C30FF 00000300
	v_mfma_f32_16x16x32_fp8_fp8 v[100:103], a[196:197], a[20:21], v[100:103]// 0000000059A0: D3F30064 1D9229C4
	v_mfma_f32_16x16x32_fp8_fp8 v[100:103], a[198:199], a[22:23], v[100:103]// 0000000059A8: D3F30064 1D922DC6
	buffer_load_dword v73, s[20:23], 0 offen lds               // 0000000059B0: E0511000 80050049
	s_add_u32 m0, 0x400, s48                                   // 0000000059B8: 807C30FF 00000400
	v_mfma_f32_16x16x32_fp8_fp8 v[140:143], a[200:201], a[16:17], v[140:143]// 0000000059C0: D3F3008C 1E3221C8
	v_mfma_f32_16x16x32_fp8_fp8 v[140:143], a[202:203], a[18:19], v[140:143]// 0000000059C8: D3F3008C 1E3225CA
	buffer_load_dword v74, s[20:23], 0 offen lds               // 0000000059D0: E0511000 8005004A
	s_add_u32 m0, 0x500, s48                                   // 0000000059D8: 807C30FF 00000500
	v_mfma_f32_16x16x32_fp8_fp8 v[140:143], a[204:205], a[20:21], v[140:143]// 0000000059E0: D3F3008C 1E3229CC
	v_mfma_f32_16x16x32_fp8_fp8 v[140:143], a[206:207], a[22:23], v[140:143]// 0000000059E8: D3F3008C 1E322DCE
	buffer_load_dword v75, s[20:23], 0 offen lds               // 0000000059F0: E0511000 8005004B
	s_add_u32 m0, 0x600, s48                                   // 0000000059F8: 807C30FF 00000600
	v_mfma_f32_16x16x32_fp8_fp8 v[104:107], a[192:193], a[24:25], v[104:107]// 000000005A00: D3F30068 1DA231C0
	v_mfma_f32_16x16x32_fp8_fp8 v[104:107], a[194:195], a[26:27], v[104:107]// 000000005A08: D3F30068 1DA235C2
	buffer_load_dword v76, s[20:23], 0 offen lds               // 000000005A10: E0511000 8005004C
	s_add_u32 m0, 0x700, s48                                   // 000000005A18: 807C30FF 00000700
	v_mfma_f32_16x16x32_fp8_fp8 v[104:107], a[196:197], a[28:29], v[104:107]// 000000005A20: D3F30068 1DA239C4
	v_mfma_f32_16x16x32_fp8_fp8 v[104:107], a[198:199], a[30:31], v[104:107]// 000000005A28: D3F30068 1DA23DC6
	buffer_load_dword v77, s[20:23], 0 offen lds               // 000000005A30: E0511000 8005004D
	s_add_u32 m0, 0x800, s48                                   // 000000005A38: 807C30FF 00000800
	v_mfma_f32_16x16x32_fp8_fp8 v[144:147], a[200:201], a[24:25], v[144:147]// 000000005A40: D3F30090 1E4231C8
	v_mfma_f32_16x16x32_fp8_fp8 v[144:147], a[202:203], a[26:27], v[144:147]// 000000005A48: D3F30090 1E4235CA
	buffer_load_dword v78, s[20:23], 0 offen lds               // 000000005A50: E0511000 8005004E
	s_add_u32 m0, 0x900, s48                                   // 000000005A58: 807C30FF 00000900
	v_mfma_f32_16x16x32_fp8_fp8 v[144:147], a[204:205], a[28:29], v[144:147]// 000000005A60: D3F30090 1E4239CC
	v_mfma_f32_16x16x32_fp8_fp8 v[144:147], a[206:207], a[30:31], v[144:147]// 000000005A68: D3F30090 1E423DCE
	buffer_load_dword v79, s[20:23], 0 offen lds               // 000000005A70: E0511000 8005004F
	s_add_u32 m0, 0xa00, s48                                   // 000000005A78: 807C30FF 00000A00
	v_mfma_f32_16x16x32_fp8_fp8 v[108:111], a[192:193], a[32:33], v[108:111]// 000000005A80: D3F3006C 1DB241C0
	v_mfma_f32_16x16x32_fp8_fp8 v[108:111], a[194:195], a[34:35], v[108:111]// 000000005A88: D3F3006C 1DB245C2
	buffer_load_dword v80, s[20:23], 0 offen lds               // 000000005A90: E0511000 80050050
	s_add_u32 m0, 0xb00, s48                                   // 000000005A98: 807C30FF 00000B00
	v_mfma_f32_16x16x32_fp8_fp8 v[108:111], a[196:197], a[36:37], v[108:111]// 000000005AA0: D3F3006C 1DB249C4
	v_mfma_f32_16x16x32_fp8_fp8 v[108:111], a[198:199], a[38:39], v[108:111]// 000000005AA8: D3F3006C 1DB24DC6
	buffer_load_dword v81, s[20:23], 0 offen lds               // 000000005AB0: E0511000 80050051
	s_add_u32 m0, 0xc00, s48                                   // 000000005AB8: 807C30FF 00000C00
	v_mfma_f32_16x16x32_fp8_fp8 v[148:151], a[200:201], a[32:33], v[148:151]// 000000005AC0: D3F30094 1E5241C8
	v_mfma_f32_16x16x32_fp8_fp8 v[148:151], a[202:203], a[34:35], v[148:151]// 000000005AC8: D3F30094 1E5245CA
	buffer_load_dword v82, s[20:23], 0 offen lds               // 000000005AD0: E0511000 80050052
	s_add_u32 m0, 0xd00, s48                                   // 000000005AD8: 807C30FF 00000D00
	v_mfma_f32_16x16x32_fp8_fp8 v[148:151], a[204:205], a[36:37], v[148:151]// 000000005AE0: D3F30094 1E5249CC
	v_mfma_f32_16x16x32_fp8_fp8 v[148:151], a[206:207], a[38:39], v[148:151]// 000000005AE8: D3F30094 1E524DCE
	buffer_load_dword v83, s[20:23], 0 offen lds               // 000000005AF0: E0511000 80050053
	s_add_u32 m0, 0xe00, s48                                   // 000000005AF8: 807C30FF 00000E00
	v_mfma_f32_16x16x32_fp8_fp8 v[112:115], a[192:193], a[40:41], v[112:115]// 000000005B00: D3F30070 1DC251C0
	v_mfma_f32_16x16x32_fp8_fp8 v[112:115], a[194:195], a[42:43], v[112:115]// 000000005B08: D3F30070 1DC255C2
	buffer_load_dword v84, s[20:23], 0 offen lds               // 000000005B10: E0511000 80050054
	s_add_u32 m0, 0xf00, s48                                   // 000000005B18: 807C30FF 00000F00
	v_mfma_f32_16x16x32_fp8_fp8 v[112:115], a[196:197], a[44:45], v[112:115]// 000000005B20: D3F30070 1DC259C4
	v_mfma_f32_16x16x32_fp8_fp8 v[112:115], a[198:199], a[46:47], v[112:115]// 000000005B28: D3F30070 1DC25DC6
	buffer_load_dword v85, s[20:23], 0 offen lds               // 000000005B30: E0511000 80050055
	s_add_u32 m0, 0x1000, s48                                  // 000000005B38: 807C30FF 00001000
	v_mfma_f32_16x16x32_fp8_fp8 v[152:155], a[200:201], a[40:41], v[152:155]// 000000005B40: D3F30098 1E6251C8
	v_mfma_f32_16x16x32_fp8_fp8 v[152:155], a[202:203], a[42:43], v[152:155]// 000000005B48: D3F30098 1E6255CA
	buffer_load_dword v86, s[20:23], 0 offen lds               // 000000005B50: E0511000 80050056
	s_add_u32 m0, 0x1100, s48                                  // 000000005B58: 807C30FF 00001100
	v_mfma_f32_16x16x32_fp8_fp8 v[152:155], a[204:205], a[44:45], v[152:155]// 000000005B60: D3F30098 1E6259CC
	v_mfma_f32_16x16x32_fp8_fp8 v[152:155], a[206:207], a[46:47], v[152:155]// 000000005B68: D3F30098 1E625DCE
	buffer_load_dword v87, s[20:23], 0 offen lds               // 000000005B70: E0511000 80050057
	s_add_u32 m0, 0x1200, s48                                  // 000000005B78: 807C30FF 00001200
	v_mfma_f32_16x16x32_fp8_fp8 v[116:119], a[192:193], a[48:49], v[116:119]// 000000005B80: D3F30074 1DD261C0
	v_mfma_f32_16x16x32_fp8_fp8 v[116:119], a[194:195], a[50:51], v[116:119]// 000000005B88: D3F30074 1DD265C2
	buffer_load_dword v88, s[20:23], 0 offen lds               // 000000005B90: E0511000 80050058
	s_add_u32 m0, 0x1300, s48                                  // 000000005B98: 807C30FF 00001300
	v_mfma_f32_16x16x32_fp8_fp8 v[116:119], a[196:197], a[52:53], v[116:119]// 000000005BA0: D3F30074 1DD269C4
	v_mfma_f32_16x16x32_fp8_fp8 v[116:119], a[198:199], a[54:55], v[116:119]// 000000005BA8: D3F30074 1DD26DC6
	buffer_load_dword v89, s[20:23], 0 offen lds               // 000000005BB0: E0511000 80050059
	s_add_u32 m0, 0, s49                                       // 000000005BB8: 807C3180
	v_mfma_f32_16x16x32_fp8_fp8 v[156:159], a[200:201], a[48:49], v[156:159]// 000000005BBC: D3F3009C 1E7261C8
	v_mfma_f32_16x16x32_fp8_fp8 v[156:159], a[202:203], a[50:51], v[156:159]// 000000005BC4: D3F3009C 1E7265CA
	v_mfma_f32_16x16x32_fp8_fp8 v[156:159], a[204:205], a[52:53], v[156:159]// 000000005BCC: D3F3009C 1E7269CC
	v_mfma_f32_16x16x32_fp8_fp8 v[156:159], a[206:207], a[54:55], v[156:159]// 000000005BD4: D3F3009C 1E726DCE
	v_mfma_f32_16x16x32_fp8_fp8 v[120:123], a[192:193], a[56:57], v[120:123]// 000000005BDC: D3F30078 1DE271C0
	v_mfma_f32_16x16x32_fp8_fp8 v[120:123], a[194:195], a[58:59], v[120:123]// 000000005BE4: D3F30078 1DE275C2
	v_mfma_f32_16x16x32_fp8_fp8 v[120:123], a[196:197], a[60:61], v[120:123]// 000000005BEC: D3F30078 1DE279C4
	v_mfma_f32_16x16x32_fp8_fp8 v[120:123], a[198:199], a[62:63], v[120:123]// 000000005BF4: D3F30078 1DE27DC6
	v_mfma_f32_16x16x32_fp8_fp8 v[160:163], a[200:201], a[56:57], v[160:163]// 000000005BFC: D3F300A0 1E8271C8
	v_mfma_f32_16x16x32_fp8_fp8 v[160:163], a[202:203], a[58:59], v[160:163]// 000000005C04: D3F300A0 1E8275CA
	v_mfma_f32_16x16x32_fp8_fp8 v[160:163], a[204:205], a[60:61], v[160:163]// 000000005C0C: D3F300A0 1E8279CC
	v_mfma_f32_16x16x32_fp8_fp8 v[160:163], a[206:207], a[62:63], v[160:163]// 000000005C14: D3F300A0 1E827DCE
	v_mfma_f32_16x16x32_fp8_fp8 v[124:127], a[192:193], a[64:65], v[124:127]// 000000005C1C: D3F3007C 1DF281C0
	v_mfma_f32_16x16x32_fp8_fp8 v[124:127], a[194:195], a[66:67], v[124:127]// 000000005C24: D3F3007C 1DF285C2
	v_mfma_f32_16x16x32_fp8_fp8 v[124:127], a[196:197], a[68:69], v[124:127]// 000000005C2C: D3F3007C 1DF289C4
	v_mfma_f32_16x16x32_fp8_fp8 v[124:127], a[198:199], a[70:71], v[124:127]// 000000005C34: D3F3007C 1DF28DC6
	v_mfma_f32_16x16x32_fp8_fp8 v[164:167], a[200:201], a[64:65], v[164:167]// 000000005C3C: D3F300A4 1E9281C8
	v_mfma_f32_16x16x32_fp8_fp8 v[164:167], a[202:203], a[66:67], v[164:167]// 000000005C44: D3F300A4 1E9285CA
	v_mfma_f32_16x16x32_fp8_fp8 v[164:167], a[204:205], a[68:69], v[164:167]// 000000005C4C: D3F300A4 1E9289CC
	v_mfma_f32_16x16x32_fp8_fp8 v[164:167], a[206:207], a[70:71], v[164:167]// 000000005C54: D3F300A4 1E928DCE
	v_mfma_f32_16x16x32_fp8_fp8 v[128:131], a[192:193], a[72:73], v[128:131]// 000000005C5C: D3F30080 1E0291C0
	v_mfma_f32_16x16x32_fp8_fp8 v[128:131], a[194:195], a[74:75], v[128:131]// 000000005C64: D3F30080 1E0295C2
	v_mfma_f32_16x16x32_fp8_fp8 v[128:131], a[196:197], a[76:77], v[128:131]// 000000005C6C: D3F30080 1E0299C4
	v_mfma_f32_16x16x32_fp8_fp8 v[128:131], a[198:199], a[78:79], v[128:131]// 000000005C74: D3F30080 1E029DC6
	v_mfma_f32_16x16x32_fp8_fp8 v[168:171], a[200:201], a[72:73], v[168:171]// 000000005C7C: D3F300A8 1EA291C8
	v_mfma_f32_16x16x32_fp8_fp8 v[168:171], a[202:203], a[74:75], v[168:171]// 000000005C84: D3F300A8 1EA295CA
	v_mfma_f32_16x16x32_fp8_fp8 v[168:171], a[204:205], a[76:77], v[168:171]// 000000005C8C: D3F300A8 1EA299CC
	v_mfma_f32_16x16x32_fp8_fp8 v[168:171], a[206:207], a[78:79], v[168:171]// 000000005C94: D3F300A8 1EA29DCE
	s_waitcnt vmcnt(24)                                        // 000000005C9C: BF8C4F78
	s_barrier                                                  // 000000005CA0: BF8A0000
	v_mfma_f32_16x16x32_fp8_fp8 v[172:175], a[160:161], a[0:1], v[172:175]// 000000005CA4: D3F300AC 1EB201A0
	v_mfma_f32_16x16x32_fp8_fp8 v[172:175], a[162:163], a[2:3], v[172:175]// 000000005CAC: D3F300AC 1EB205A2
	buffer_load_dwordx4 a[192:195], v90, s[84:87], 0 offen     // 000000005CB4: E05C1000 8095C05A
	v_mfma_f32_16x16x32_fp8_fp8 v[172:175], a[164:165], a[4:5], v[172:175]// 000000005CBC: D3F300AC 1EB209A4
	v_mfma_f32_16x16x32_fp8_fp8 v[172:175], a[166:167], a[6:7], v[172:175]// 000000005CC4: D3F300AC 1EB20DA6
	ds_read_b128 a[80:83], v2 offset:41216                     // 000000005CCC: DBFEA100 50000002
	ds_read_b128 a[84:87], v2 offset:41280                     // 000000005CD4: DBFEA140 54000002
	v_mfma_f32_16x16x32_fp8_fp8 v[212:215], a[168:169], a[0:1], v[212:215]// 000000005CDC: D3F300D4 1F5201A8
	v_mfma_f32_16x16x32_fp8_fp8 v[212:215], a[170:171], a[2:3], v[212:215]// 000000005CE4: D3F300D4 1F5205AA
	buffer_load_dwordx4 a[196:199], v90, s[84:87], 0 offen offset:1024// 000000005CEC: E05C1400 8095C45A
	v_mfma_f32_16x16x32_fp8_fp8 v[212:215], a[172:173], a[4:5], v[212:215]// 000000005CF4: D3F300D4 1F5209AC
	v_mfma_f32_16x16x32_fp8_fp8 v[212:215], a[174:175], a[6:7], v[212:215]// 000000005CFC: D3F300D4 1F520DAE
	ds_read_b128 a[88:91], v2 offset:41728                     // 000000005D04: DBFEA300 58000002
	ds_read_b128 a[92:95], v2 offset:41792                     // 000000005D0C: DBFEA340 5C000002
	v_mfma_f32_16x16x32_fp8_fp8 v[176:179], a[160:161], a[8:9], v[176:179]// 000000005D14: D3F300B0 1EC211A0
	v_mfma_f32_16x16x32_fp8_fp8 v[176:179], a[162:163], a[10:11], v[176:179]// 000000005D1C: D3F300B0 1EC215A2
	buffer_load_dwordx4 a[200:203], v91, s[84:87], 0 offen     // 000000005D24: E05C1000 8095C85B
	v_mfma_f32_16x16x32_fp8_fp8 v[176:179], a[164:165], a[12:13], v[176:179]// 000000005D2C: D3F300B0 1EC219A4
	v_mfma_f32_16x16x32_fp8_fp8 v[176:179], a[166:167], a[14:15], v[176:179]// 000000005D34: D3F300B0 1EC21DA6
	ds_read_b128 a[96:99], v2 offset:42240                     // 000000005D3C: DBFEA500 60000002
	ds_read_b128 a[100:103], v2 offset:42304                   // 000000005D44: DBFEA540 64000002
	v_mfma_f32_16x16x32_fp8_fp8 v[216:219], a[168:169], a[8:9], v[216:219]// 000000005D4C: D3F300D8 1F6211A8
	v_mfma_f32_16x16x32_fp8_fp8 v[216:219], a[170:171], a[10:11], v[216:219]// 000000005D54: D3F300D8 1F6215AA
	buffer_load_dwordx4 a[204:207], v91, s[84:87], 0 offen offset:1024// 000000005D5C: E05C1400 8095CC5B
	v_mfma_f32_16x16x32_fp8_fp8 v[216:219], a[172:173], a[12:13], v[216:219]// 000000005D64: D3F300D8 1F6219AC
	v_mfma_f32_16x16x32_fp8_fp8 v[216:219], a[174:175], a[14:15], v[216:219]// 000000005D6C: D3F300D8 1F621DAE
	ds_read_b128 a[104:107], v2 offset:42752                   // 000000005D74: DBFEA700 68000002
	ds_read_b128 a[108:111], v2 offset:42816                   // 000000005D7C: DBFEA740 6C000002
	v_mfma_f32_16x16x32_fp8_fp8 v[180:183], a[160:161], a[16:17], v[180:183]// 000000005D84: D3F300B4 1ED221A0
	v_mfma_f32_16x16x32_fp8_fp8 v[180:183], a[162:163], a[18:19], v[180:183]// 000000005D8C: D3F300B4 1ED225A2
	v_mfma_f32_16x16x32_fp8_fp8 v[180:183], a[164:165], a[20:21], v[180:183]// 000000005D94: D3F300B4 1ED229A4
	v_mfma_f32_16x16x32_fp8_fp8 v[180:183], a[166:167], a[22:23], v[180:183]// 000000005D9C: D3F300B4 1ED22DA6
	ds_read_b128 a[112:115], v2 offset:43264                   // 000000005DA4: DBFEA900 70000002
	ds_read_b128 a[116:119], v2 offset:43328                   // 000000005DAC: DBFEA940 74000002
	v_mfma_f32_16x16x32_fp8_fp8 v[220:223], a[168:169], a[16:17], v[220:223]// 000000005DB4: D3F300DC 1F7221A8
	v_mfma_f32_16x16x32_fp8_fp8 v[220:223], a[170:171], a[18:19], v[220:223]// 000000005DBC: D3F300DC 1F7225AA
	v_mfma_f32_16x16x32_fp8_fp8 v[220:223], a[172:173], a[20:21], v[220:223]// 000000005DC4: D3F300DC 1F7229AC
	v_mfma_f32_16x16x32_fp8_fp8 v[220:223], a[174:175], a[22:23], v[220:223]// 000000005DCC: D3F300DC 1F722DAE
	ds_read_b128 a[120:123], v2 offset:43776                   // 000000005DD4: DBFEAB00 78000002
	ds_read_b128 a[124:127], v2 offset:43840                   // 000000005DDC: DBFEAB40 7C000002
	v_mfma_f32_16x16x32_fp8_fp8 v[184:187], a[160:161], a[24:25], v[184:187]// 000000005DE4: D3F300B8 1EE231A0
	v_mfma_f32_16x16x32_fp8_fp8 v[184:187], a[162:163], a[26:27], v[184:187]// 000000005DEC: D3F300B8 1EE235A2
	v_mfma_f32_16x16x32_fp8_fp8 v[184:187], a[164:165], a[28:29], v[184:187]// 000000005DF4: D3F300B8 1EE239A4
	v_mfma_f32_16x16x32_fp8_fp8 v[184:187], a[166:167], a[30:31], v[184:187]// 000000005DFC: D3F300B8 1EE23DA6
	ds_read_b128 a[128:131], v2 offset:44288                   // 000000005E04: DBFEAD00 80000002
	ds_read_b128 a[132:135], v2 offset:44352                   // 000000005E0C: DBFEAD40 84000002
	v_mfma_f32_16x16x32_fp8_fp8 v[224:227], a[168:169], a[24:25], v[224:227]// 000000005E14: D3F300E0 1F8231A8
	v_mfma_f32_16x16x32_fp8_fp8 v[224:227], a[170:171], a[26:27], v[224:227]// 000000005E1C: D3F300E0 1F8235AA
	v_mfma_f32_16x16x32_fp8_fp8 v[224:227], a[172:173], a[28:29], v[224:227]// 000000005E24: D3F300E0 1F8239AC
	v_mfma_f32_16x16x32_fp8_fp8 v[224:227], a[174:175], a[30:31], v[224:227]// 000000005E2C: D3F300E0 1F823DAE
	ds_read_b128 a[136:139], v2 offset:44800                   // 000000005E34: DBFEAF00 88000002
	ds_read_b128 a[140:143], v2 offset:44864                   // 000000005E3C: DBFEAF40 8C000002
	v_mfma_f32_16x16x32_fp8_fp8 v[188:191], a[160:161], a[32:33], v[188:191]// 000000005E44: D3F300BC 1EF241A0
	v_mfma_f32_16x16x32_fp8_fp8 v[188:191], a[162:163], a[34:35], v[188:191]// 000000005E4C: D3F300BC 1EF245A2
	v_mfma_f32_16x16x32_fp8_fp8 v[188:191], a[164:165], a[36:37], v[188:191]// 000000005E54: D3F300BC 1EF249A4
	v_mfma_f32_16x16x32_fp8_fp8 v[188:191], a[166:167], a[38:39], v[188:191]// 000000005E5C: D3F300BC 1EF24DA6
	ds_read_b128 a[144:147], v2 offset:45312                   // 000000005E64: DBFEB100 90000002
	ds_read_b128 a[148:151], v2 offset:45376                   // 000000005E6C: DBFEB140 94000002
	v_mfma_f32_16x16x32_fp8_fp8 v[228:231], a[168:169], a[32:33], v[228:231]// 000000005E74: D3F300E4 1F9241A8
	v_mfma_f32_16x16x32_fp8_fp8 v[228:231], a[170:171], a[34:35], v[228:231]// 000000005E7C: D3F300E4 1F9245AA
	v_mfma_f32_16x16x32_fp8_fp8 v[228:231], a[172:173], a[36:37], v[228:231]// 000000005E84: D3F300E4 1F9249AC
	v_mfma_f32_16x16x32_fp8_fp8 v[228:231], a[174:175], a[38:39], v[228:231]// 000000005E8C: D3F300E4 1F924DAE
	ds_read_b128 a[152:155], v2 offset:45824                   // 000000005E94: DBFEB300 98000002
	ds_read_b128 a[156:159], v2 offset:45888                   // 000000005E9C: DBFEB340 9C000002
	v_mfma_f32_16x16x32_fp8_fp8 v[192:195], a[160:161], a[40:41], v[192:195]// 000000005EA4: D3F300C0 1F0251A0
	v_mfma_f32_16x16x32_fp8_fp8 v[192:195], a[162:163], a[42:43], v[192:195]// 000000005EAC: D3F300C0 1F0255A2
	v_mfma_f32_16x16x32_fp8_fp8 v[192:195], a[164:165], a[44:45], v[192:195]// 000000005EB4: D3F300C0 1F0259A4
	v_mfma_f32_16x16x32_fp8_fp8 v[192:195], a[166:167], a[46:47], v[192:195]// 000000005EBC: D3F300C0 1F025DA6
	v_mfma_f32_16x16x32_fp8_fp8 v[232:235], a[168:169], a[40:41], v[232:235]// 000000005EC4: D3F300E8 1FA251A8
	v_mfma_f32_16x16x32_fp8_fp8 v[232:235], a[170:171], a[42:43], v[232:235]// 000000005ECC: D3F300E8 1FA255AA
	v_mfma_f32_16x16x32_fp8_fp8 v[232:235], a[172:173], a[44:45], v[232:235]// 000000005ED4: D3F300E8 1FA259AC
	v_mfma_f32_16x16x32_fp8_fp8 v[232:235], a[174:175], a[46:47], v[232:235]// 000000005EDC: D3F300E8 1FA25DAE
	v_mfma_f32_16x16x32_fp8_fp8 v[196:199], a[160:161], a[48:49], v[196:199]// 000000005EE4: D3F300C4 1F1261A0
	v_mfma_f32_16x16x32_fp8_fp8 v[196:199], a[162:163], a[50:51], v[196:199]// 000000005EEC: D3F300C4 1F1265A2
	v_mfma_f32_16x16x32_fp8_fp8 v[196:199], a[164:165], a[52:53], v[196:199]// 000000005EF4: D3F300C4 1F1269A4
	v_mfma_f32_16x16x32_fp8_fp8 v[196:199], a[166:167], a[54:55], v[196:199]// 000000005EFC: D3F300C4 1F126DA6
	v_mfma_f32_16x16x32_fp8_fp8 v[236:239], a[168:169], a[48:49], v[236:239]// 000000005F04: D3F300EC 1FB261A8
	v_mfma_f32_16x16x32_fp8_fp8 v[236:239], a[170:171], a[50:51], v[236:239]// 000000005F0C: D3F300EC 1FB265AA
	v_mfma_f32_16x16x32_fp8_fp8 v[236:239], a[172:173], a[52:53], v[236:239]// 000000005F14: D3F300EC 1FB269AC
	v_mfma_f32_16x16x32_fp8_fp8 v[236:239], a[174:175], a[54:55], v[236:239]// 000000005F1C: D3F300EC 1FB26DAE
	v_mfma_f32_16x16x32_fp8_fp8 v[200:203], a[160:161], a[56:57], v[200:203]// 000000005F24: D3F300C8 1F2271A0
	v_mfma_f32_16x16x32_fp8_fp8 v[200:203], a[162:163], a[58:59], v[200:203]// 000000005F2C: D3F300C8 1F2275A2
	v_mfma_f32_16x16x32_fp8_fp8 v[200:203], a[164:165], a[60:61], v[200:203]// 000000005F34: D3F300C8 1F2279A4
	v_mfma_f32_16x16x32_fp8_fp8 v[200:203], a[166:167], a[62:63], v[200:203]// 000000005F3C: D3F300C8 1F227DA6
	v_mfma_f32_16x16x32_fp8_fp8 v[240:243], a[168:169], a[56:57], v[240:243]// 000000005F44: D3F300F0 1FC271A8
	v_mfma_f32_16x16x32_fp8_fp8 v[240:243], a[170:171], a[58:59], v[240:243]// 000000005F4C: D3F300F0 1FC275AA
	v_mfma_f32_16x16x32_fp8_fp8 v[240:243], a[172:173], a[60:61], v[240:243]// 000000005F54: D3F300F0 1FC279AC
	v_mfma_f32_16x16x32_fp8_fp8 v[240:243], a[174:175], a[62:63], v[240:243]// 000000005F5C: D3F300F0 1FC27DAE
	v_mfma_f32_16x16x32_fp8_fp8 v[204:207], a[160:161], a[64:65], v[204:207]// 000000005F64: D3F300CC 1F3281A0
	v_mfma_f32_16x16x32_fp8_fp8 v[204:207], a[162:163], a[66:67], v[204:207]// 000000005F6C: D3F300CC 1F3285A2
	v_mfma_f32_16x16x32_fp8_fp8 v[204:207], a[164:165], a[68:69], v[204:207]// 000000005F74: D3F300CC 1F3289A4
	v_mfma_f32_16x16x32_fp8_fp8 v[204:207], a[166:167], a[70:71], v[204:207]// 000000005F7C: D3F300CC 1F328DA6
	v_mfma_f32_16x16x32_fp8_fp8 v[244:247], a[168:169], a[64:65], v[244:247]// 000000005F84: D3F300F4 1FD281A8
	v_mfma_f32_16x16x32_fp8_fp8 v[244:247], a[170:171], a[66:67], v[244:247]// 000000005F8C: D3F300F4 1FD285AA
	v_mfma_f32_16x16x32_fp8_fp8 v[244:247], a[172:173], a[68:69], v[244:247]// 000000005F94: D3F300F4 1FD289AC
	v_mfma_f32_16x16x32_fp8_fp8 v[244:247], a[174:175], a[70:71], v[244:247]// 000000005F9C: D3F300F4 1FD28DAE
	v_mfma_f32_16x16x32_fp8_fp8 v[208:211], a[160:161], a[72:73], v[208:211]// 000000005FA4: D3F300D0 1F4291A0
	s_add_u32 s60, 0x180, s80                                  // 000000005FAC: 803C50FF 00000180
	s_cmp_lt_u32 s60, s81                                      // 000000005FB4: BF0A513C
	s_cselect_b32 s57, s57, 0                                  // 000000005FB8: 85398039
	v_mfma_f32_16x16x32_fp8_fp8 v[208:211], a[162:163], a[74:75], v[208:211]// 000000005FBC: D3F300D0 1F4295A2
	s_add_u32 s60, 0x100, s80                                  // 000000005FC4: 803C50FF 00000100
	s_cmp_lt_u32 s60, s81                                      // 000000005FCC: BF0A513C
	s_cselect_b32 s58, s58, 0                                  // 000000005FD0: 853A803A
	v_mfma_f32_16x16x32_fp8_fp8 v[208:211], a[164:165], a[76:77], v[208:211]// 000000005FD4: D3F300D0 1F4299A4
	s_add_u32 s60, 0x100, s80                                  // 000000005FDC: 803C50FF 00000100
	s_cmp_lt_u32 s60, s81                                      // 000000005FE4: BF0A513C
	s_cselect_b32 s83, s83, 0                                  // 000000005FE8: 85538053
	v_mfma_f32_16x16x32_fp8_fp8 v[208:211], a[166:167], a[78:79], v[208:211]// 000000005FEC: D3F300D0 1F429DA6
	s_add_u32 s24, s58, s24                                    // 000000005FF4: 8018183A
	s_addc_u32 s25, 0, s25                                     // 000000005FF8: 82191980
	v_mfma_f32_16x16x32_fp8_fp8 v[248:251], a[168:169], a[72:73], v[248:251]// 000000005FFC: D3F300F8 1FE291A8
	s_add_u32 s20, s57, s20                                    // 000000006004: 80141439
	s_addc_u32 s21, 0, s21                                     // 000000006008: 82151580
	v_mfma_f32_16x16x32_fp8_fp8 v[248:251], a[170:171], a[74:75], v[248:251]// 00000000600C: D3F300F8 1FE295AA
	s_add_u32 s84, s83, s84                                    // 000000006014: 80545453
	s_addc_u32 s85, 0, s85                                     // 000000006018: 82555580
	v_mfma_f32_16x16x32_fp8_fp8 v[248:251], a[172:173], a[76:77], v[248:251]// 00000000601C: D3F300F8 1FE299AC
	v_mfma_f32_16x16x32_fp8_fp8 v[248:251], a[174:175], a[78:79], v[248:251]// 000000006024: D3F300F8 1FE29DAE
	s_addk_i32 s80, 0x80                                       // 00000000602C: B7500080
	s_cmp_lt_i32 s80, s81                                      // 000000006030: BF045150
	s_cbranch_scc0 label_0F6E                                  // 000000006034: BF8401E0
	s_waitcnt vmcnt(24) lgkmcnt(0)                             // 000000006038: BF8C4078
	v_mfma_f32_16x16x32_fp8_fp8 v[92:95], a[176:177], a[80:81], v[92:95]// 00000000603C: D3F3005C 1D72A1B0
	v_mfma_f32_16x16x32_fp8_fp8 v[92:95], a[178:179], a[82:83], v[92:95]// 000000006044: D3F3005C 1D72A5B2
	buffer_load_dwordx4 a[160:163], v90, s[24:27], 0 offen     // 00000000604C: E05C1000 8086A05A
	v_mfma_f32_16x16x32_fp8_fp8 v[92:95], a[180:181], a[84:85], v[92:95]// 000000006054: D3F3005C 1D72A9B4
	v_mfma_f32_16x16x32_fp8_fp8 v[92:95], a[182:183], a[86:87], v[92:95]// 00000000605C: D3F3005C 1D72ADB6
	v_mfma_f32_16x16x32_fp8_fp8 v[132:135], a[184:185], a[80:81], v[132:135]// 000000006064: D3F30084 1E12A1B8
	v_mfma_f32_16x16x32_fp8_fp8 v[132:135], a[186:187], a[82:83], v[132:135]// 00000000606C: D3F30084 1E12A5BA
	buffer_load_dwordx4 a[164:167], v90, s[24:27], 0 offen offset:1024// 000000006074: E05C1400 8086A45A
	v_mfma_f32_16x16x32_fp8_fp8 v[132:135], a[188:189], a[84:85], v[132:135]// 00000000607C: D3F30084 1E12A9BC
	v_mfma_f32_16x16x32_fp8_fp8 v[132:135], a[190:191], a[86:87], v[132:135]// 000000006084: D3F30084 1E12ADBE
	v_mfma_f32_16x16x32_fp8_fp8 v[96:99], a[176:177], a[88:89], v[96:99]// 00000000608C: D3F30060 1D82B1B0
	v_mfma_f32_16x16x32_fp8_fp8 v[96:99], a[178:179], a[90:91], v[96:99]// 000000006094: D3F30060 1D82B5B2
	buffer_load_dwordx4 a[168:171], v91, s[24:27], 0 offen     // 00000000609C: E05C1000 8086A85B
	v_mfma_f32_16x16x32_fp8_fp8 v[96:99], a[180:181], a[92:93], v[96:99]// 0000000060A4: D3F30060 1D82B9B4
	v_mfma_f32_16x16x32_fp8_fp8 v[96:99], a[182:183], a[94:95], v[96:99]// 0000000060AC: D3F30060 1D82BDB6
	v_mfma_f32_16x16x32_fp8_fp8 v[136:139], a[184:185], a[88:89], v[136:139]// 0000000060B4: D3F30088 1E22B1B8
	v_mfma_f32_16x16x32_fp8_fp8 v[136:139], a[186:187], a[90:91], v[136:139]// 0000000060BC: D3F30088 1E22B5BA
	buffer_load_dwordx4 a[172:175], v91, s[24:27], 0 offen offset:1024// 0000000060C4: E05C1400 8086AC5B
	buffer_load_dword v70, s[20:23], 0 offen lds               // 0000000060CC: E0511000 80050046
	s_add_u32 m0, 0x100, s49                                   // 0000000060D4: 807C31FF 00000100
	v_mfma_f32_16x16x32_fp8_fp8 v[136:139], a[188:189], a[92:93], v[136:139]// 0000000060DC: D3F30088 1E22B9BC
	v_mfma_f32_16x16x32_fp8_fp8 v[136:139], a[190:191], a[94:95], v[136:139]// 0000000060E4: D3F30088 1E22BDBE
	buffer_load_dword v71, s[20:23], 0 offen lds               // 0000000060EC: E0511000 80050047
	s_add_u32 m0, 0x200, s49                                   // 0000000060F4: 807C31FF 00000200
	v_mfma_f32_16x16x32_fp8_fp8 v[100:103], a[176:177], a[96:97], v[100:103]// 0000000060FC: D3F30064 1D92C1B0
	v_mfma_f32_16x16x32_fp8_fp8 v[100:103], a[178:179], a[98:99], v[100:103]// 000000006104: D3F30064 1D92C5B2
	buffer_load_dword v72, s[20:23], 0 offen lds               // 00000000610C: E0511000 80050048
	s_add_u32 m0, 0x300, s49                                   // 000000006114: 807C31FF 00000300
	v_mfma_f32_16x16x32_fp8_fp8 v[100:103], a[180:181], a[100:101], v[100:103]// 00000000611C: D3F30064 1D92C9B4
	v_mfma_f32_16x16x32_fp8_fp8 v[100:103], a[182:183], a[102:103], v[100:103]// 000000006124: D3F30064 1D92CDB6
	buffer_load_dword v73, s[20:23], 0 offen lds               // 00000000612C: E0511000 80050049
	s_add_u32 m0, 0x400, s49                                   // 000000006134: 807C31FF 00000400
	v_mfma_f32_16x16x32_fp8_fp8 v[140:143], a[184:185], a[96:97], v[140:143]// 00000000613C: D3F3008C 1E32C1B8
	v_mfma_f32_16x16x32_fp8_fp8 v[140:143], a[186:187], a[98:99], v[140:143]// 000000006144: D3F3008C 1E32C5BA
	buffer_load_dword v74, s[20:23], 0 offen lds               // 00000000614C: E0511000 8005004A
	s_add_u32 m0, 0x500, s49                                   // 000000006154: 807C31FF 00000500
	v_mfma_f32_16x16x32_fp8_fp8 v[140:143], a[188:189], a[100:101], v[140:143]// 00000000615C: D3F3008C 1E32C9BC
	v_mfma_f32_16x16x32_fp8_fp8 v[140:143], a[190:191], a[102:103], v[140:143]// 000000006164: D3F3008C 1E32CDBE
	buffer_load_dword v75, s[20:23], 0 offen lds               // 00000000616C: E0511000 8005004B
	s_add_u32 m0, 0x600, s49                                   // 000000006174: 807C31FF 00000600
	v_mfma_f32_16x16x32_fp8_fp8 v[104:107], a[176:177], a[104:105], v[104:107]// 00000000617C: D3F30068 1DA2D1B0
	v_mfma_f32_16x16x32_fp8_fp8 v[104:107], a[178:179], a[106:107], v[104:107]// 000000006184: D3F30068 1DA2D5B2
	buffer_load_dword v76, s[20:23], 0 offen lds               // 00000000618C: E0511000 8005004C
	s_add_u32 m0, 0x700, s49                                   // 000000006194: 807C31FF 00000700
	v_mfma_f32_16x16x32_fp8_fp8 v[104:107], a[180:181], a[108:109], v[104:107]// 00000000619C: D3F30068 1DA2D9B4
	v_mfma_f32_16x16x32_fp8_fp8 v[104:107], a[182:183], a[110:111], v[104:107]// 0000000061A4: D3F30068 1DA2DDB6
	buffer_load_dword v77, s[20:23], 0 offen lds               // 0000000061AC: E0511000 8005004D
	s_add_u32 m0, 0x800, s49                                   // 0000000061B4: 807C31FF 00000800
	v_mfma_f32_16x16x32_fp8_fp8 v[144:147], a[184:185], a[104:105], v[144:147]// 0000000061BC: D3F30090 1E42D1B8
	v_mfma_f32_16x16x32_fp8_fp8 v[144:147], a[186:187], a[106:107], v[144:147]// 0000000061C4: D3F30090 1E42D5BA
	buffer_load_dword v78, s[20:23], 0 offen lds               // 0000000061CC: E0511000 8005004E
	s_add_u32 m0, 0x900, s49                                   // 0000000061D4: 807C31FF 00000900
	v_mfma_f32_16x16x32_fp8_fp8 v[144:147], a[188:189], a[108:109], v[144:147]// 0000000061DC: D3F30090 1E42D9BC
	v_mfma_f32_16x16x32_fp8_fp8 v[144:147], a[190:191], a[110:111], v[144:147]// 0000000061E4: D3F30090 1E42DDBE
	buffer_load_dword v79, s[20:23], 0 offen lds               // 0000000061EC: E0511000 8005004F
	s_add_u32 m0, 0xa00, s49                                   // 0000000061F4: 807C31FF 00000A00
	v_mfma_f32_16x16x32_fp8_fp8 v[108:111], a[176:177], a[112:113], v[108:111]// 0000000061FC: D3F3006C 1DB2E1B0
	v_mfma_f32_16x16x32_fp8_fp8 v[108:111], a[178:179], a[114:115], v[108:111]// 000000006204: D3F3006C 1DB2E5B2
	buffer_load_dword v80, s[20:23], 0 offen lds               // 00000000620C: E0511000 80050050
	s_add_u32 m0, 0xb00, s49                                   // 000000006214: 807C31FF 00000B00
	v_mfma_f32_16x16x32_fp8_fp8 v[108:111], a[180:181], a[116:117], v[108:111]// 00000000621C: D3F3006C 1DB2E9B4
	v_mfma_f32_16x16x32_fp8_fp8 v[108:111], a[182:183], a[118:119], v[108:111]// 000000006224: D3F3006C 1DB2EDB6
	buffer_load_dword v81, s[20:23], 0 offen lds               // 00000000622C: E0511000 80050051
	s_add_u32 m0, 0xc00, s49                                   // 000000006234: 807C31FF 00000C00
	v_mfma_f32_16x16x32_fp8_fp8 v[148:151], a[184:185], a[112:113], v[148:151]// 00000000623C: D3F30094 1E52E1B8
	v_mfma_f32_16x16x32_fp8_fp8 v[148:151], a[186:187], a[114:115], v[148:151]// 000000006244: D3F30094 1E52E5BA
	buffer_load_dword v82, s[20:23], 0 offen lds               // 00000000624C: E0511000 80050052
	s_add_u32 m0, 0xd00, s49                                   // 000000006254: 807C31FF 00000D00
	v_mfma_f32_16x16x32_fp8_fp8 v[148:151], a[188:189], a[116:117], v[148:151]// 00000000625C: D3F30094 1E52E9BC
	v_mfma_f32_16x16x32_fp8_fp8 v[148:151], a[190:191], a[118:119], v[148:151]// 000000006264: D3F30094 1E52EDBE
	buffer_load_dword v83, s[20:23], 0 offen lds               // 00000000626C: E0511000 80050053
	s_add_u32 m0, 0xe00, s49                                   // 000000006274: 807C31FF 00000E00
	v_mfma_f32_16x16x32_fp8_fp8 v[112:115], a[176:177], a[120:121], v[112:115]// 00000000627C: D3F30070 1DC2F1B0
	v_mfma_f32_16x16x32_fp8_fp8 v[112:115], a[178:179], a[122:123], v[112:115]// 000000006284: D3F30070 1DC2F5B2
	buffer_load_dword v84, s[20:23], 0 offen lds               // 00000000628C: E0511000 80050054
	s_add_u32 m0, 0xf00, s49                                   // 000000006294: 807C31FF 00000F00
	v_mfma_f32_16x16x32_fp8_fp8 v[112:115], a[180:181], a[124:125], v[112:115]// 00000000629C: D3F30070 1DC2F9B4
	v_mfma_f32_16x16x32_fp8_fp8 v[112:115], a[182:183], a[126:127], v[112:115]// 0000000062A4: D3F30070 1DC2FDB6
	buffer_load_dword v85, s[20:23], 0 offen lds               // 0000000062AC: E0511000 80050055
	s_add_u32 m0, 0x1000, s49                                  // 0000000062B4: 807C31FF 00001000
	v_mfma_f32_16x16x32_fp8_fp8 v[152:155], a[184:185], a[120:121], v[152:155]// 0000000062BC: D3F30098 1E62F1B8
	v_mfma_f32_16x16x32_fp8_fp8 v[152:155], a[186:187], a[122:123], v[152:155]// 0000000062C4: D3F30098 1E62F5BA
	buffer_load_dword v86, s[20:23], 0 offen lds               // 0000000062CC: E0511000 80050056
	s_add_u32 m0, 0x1100, s49                                  // 0000000062D4: 807C31FF 00001100
	v_mfma_f32_16x16x32_fp8_fp8 v[152:155], a[188:189], a[124:125], v[152:155]// 0000000062DC: D3F30098 1E62F9BC
	v_mfma_f32_16x16x32_fp8_fp8 v[152:155], a[190:191], a[126:127], v[152:155]// 0000000062E4: D3F30098 1E62FDBE
	buffer_load_dword v87, s[20:23], 0 offen lds               // 0000000062EC: E0511000 80050057
	s_add_u32 m0, 0x1200, s49                                  // 0000000062F4: 807C31FF 00001200
	v_mfma_f32_16x16x32_fp8_fp8 v[116:119], a[176:177], a[128:129], v[116:119]// 0000000062FC: D3F30074 1DD301B0
	v_mfma_f32_16x16x32_fp8_fp8 v[116:119], a[178:179], a[130:131], v[116:119]// 000000006304: D3F30074 1DD305B2
	buffer_load_dword v88, s[20:23], 0 offen lds               // 00000000630C: E0511000 80050058
	s_add_u32 m0, 0x1300, s49                                  // 000000006314: 807C31FF 00001300
	v_mfma_f32_16x16x32_fp8_fp8 v[116:119], a[180:181], a[132:133], v[116:119]// 00000000631C: D3F30074 1DD309B4
	v_mfma_f32_16x16x32_fp8_fp8 v[116:119], a[182:183], a[134:135], v[116:119]// 000000006324: D3F30074 1DD30DB6
	buffer_load_dword v89, s[20:23], 0 offen lds               // 00000000632C: E0511000 80050059
	s_add_u32 m0, 0, s50                                       // 000000006334: 807C3280
	v_mfma_f32_16x16x32_fp8_fp8 v[156:159], a[184:185], a[128:129], v[156:159]// 000000006338: D3F3009C 1E7301B8
	v_mfma_f32_16x16x32_fp8_fp8 v[156:159], a[186:187], a[130:131], v[156:159]// 000000006340: D3F3009C 1E7305BA
	v_mfma_f32_16x16x32_fp8_fp8 v[156:159], a[188:189], a[132:133], v[156:159]// 000000006348: D3F3009C 1E7309BC
	v_mfma_f32_16x16x32_fp8_fp8 v[156:159], a[190:191], a[134:135], v[156:159]// 000000006350: D3F3009C 1E730DBE
	v_mfma_f32_16x16x32_fp8_fp8 v[120:123], a[176:177], a[136:137], v[120:123]// 000000006358: D3F30078 1DE311B0
	v_mfma_f32_16x16x32_fp8_fp8 v[120:123], a[178:179], a[138:139], v[120:123]// 000000006360: D3F30078 1DE315B2
	v_mfma_f32_16x16x32_fp8_fp8 v[120:123], a[180:181], a[140:141], v[120:123]// 000000006368: D3F30078 1DE319B4
	v_mfma_f32_16x16x32_fp8_fp8 v[120:123], a[182:183], a[142:143], v[120:123]// 000000006370: D3F30078 1DE31DB6
	v_mfma_f32_16x16x32_fp8_fp8 v[160:163], a[184:185], a[136:137], v[160:163]// 000000006378: D3F300A0 1E8311B8
	v_mfma_f32_16x16x32_fp8_fp8 v[160:163], a[186:187], a[138:139], v[160:163]// 000000006380: D3F300A0 1E8315BA
	v_mfma_f32_16x16x32_fp8_fp8 v[160:163], a[188:189], a[140:141], v[160:163]// 000000006388: D3F300A0 1E8319BC
	v_mfma_f32_16x16x32_fp8_fp8 v[160:163], a[190:191], a[142:143], v[160:163]// 000000006390: D3F300A0 1E831DBE
	v_mfma_f32_16x16x32_fp8_fp8 v[124:127], a[176:177], a[144:145], v[124:127]// 000000006398: D3F3007C 1DF321B0
	v_mfma_f32_16x16x32_fp8_fp8 v[124:127], a[178:179], a[146:147], v[124:127]// 0000000063A0: D3F3007C 1DF325B2
	v_mfma_f32_16x16x32_fp8_fp8 v[124:127], a[180:181], a[148:149], v[124:127]// 0000000063A8: D3F3007C 1DF329B4
	v_mfma_f32_16x16x32_fp8_fp8 v[124:127], a[182:183], a[150:151], v[124:127]// 0000000063B0: D3F3007C 1DF32DB6
	v_mfma_f32_16x16x32_fp8_fp8 v[164:167], a[184:185], a[144:145], v[164:167]// 0000000063B8: D3F300A4 1E9321B8
	v_mfma_f32_16x16x32_fp8_fp8 v[164:167], a[186:187], a[146:147], v[164:167]// 0000000063C0: D3F300A4 1E9325BA
	v_mfma_f32_16x16x32_fp8_fp8 v[164:167], a[188:189], a[148:149], v[164:167]// 0000000063C8: D3F300A4 1E9329BC
	v_mfma_f32_16x16x32_fp8_fp8 v[164:167], a[190:191], a[150:151], v[164:167]// 0000000063D0: D3F300A4 1E932DBE
	v_mfma_f32_16x16x32_fp8_fp8 v[128:131], a[176:177], a[152:153], v[128:131]// 0000000063D8: D3F30080 1E0331B0
	v_mfma_f32_16x16x32_fp8_fp8 v[128:131], a[178:179], a[154:155], v[128:131]// 0000000063E0: D3F30080 1E0335B2
	v_mfma_f32_16x16x32_fp8_fp8 v[128:131], a[180:181], a[156:157], v[128:131]// 0000000063E8: D3F30080 1E0339B4
	v_mfma_f32_16x16x32_fp8_fp8 v[128:131], a[182:183], a[158:159], v[128:131]// 0000000063F0: D3F30080 1E033DB6
	v_mfma_f32_16x16x32_fp8_fp8 v[168:171], a[184:185], a[152:153], v[168:171]// 0000000063F8: D3F300A8 1EA331B8
	v_mfma_f32_16x16x32_fp8_fp8 v[168:171], a[186:187], a[154:155], v[168:171]// 000000006400: D3F300A8 1EA335BA
	v_mfma_f32_16x16x32_fp8_fp8 v[168:171], a[188:189], a[156:157], v[168:171]// 000000006408: D3F300A8 1EA339BC
	v_mfma_f32_16x16x32_fp8_fp8 v[168:171], a[190:191], a[158:159], v[168:171]// 000000006410: D3F300A8 1EA33DBE
	s_waitcnt vmcnt(24)                                        // 000000006418: BF8C4F78
	s_barrier                                                  // 00000000641C: BF8A0000
	v_mfma_f32_16x16x32_fp8_fp8 v[172:175], a[192:193], a[80:81], v[172:175]// 000000006420: D3F300AC 1EB2A1C0
	v_mfma_f32_16x16x32_fp8_fp8 v[172:175], a[194:195], a[82:83], v[172:175]// 000000006428: D3F300AC 1EB2A5C2
	buffer_load_dwordx4 a[176:179], v90, s[84:87], 0 offen     // 000000006430: E05C1000 8095B05A
	v_mfma_f32_16x16x32_fp8_fp8 v[172:175], a[196:197], a[84:85], v[172:175]// 000000006438: D3F300AC 1EB2A9C4
	v_mfma_f32_16x16x32_fp8_fp8 v[172:175], a[198:199], a[86:87], v[172:175]// 000000006440: D3F300AC 1EB2ADC6
	ds_read_b128 a[0:3], v2                                    // 000000006448: DBFE0000 00000002
	ds_read_b128 a[4:7], v2 offset:64                          // 000000006450: DBFE0040 04000002
	v_mfma_f32_16x16x32_fp8_fp8 v[212:215], a[200:201], a[80:81], v[212:215]// 000000006458: D3F300D4 1F52A1C8
	v_mfma_f32_16x16x32_fp8_fp8 v[212:215], a[202:203], a[82:83], v[212:215]// 000000006460: D3F300D4 1F52A5CA
	buffer_load_dwordx4 a[180:183], v90, s[84:87], 0 offen offset:1024// 000000006468: E05C1400 8095B45A
	v_mfma_f32_16x16x32_fp8_fp8 v[212:215], a[204:205], a[84:85], v[212:215]// 000000006470: D3F300D4 1F52A9CC
	v_mfma_f32_16x16x32_fp8_fp8 v[212:215], a[206:207], a[86:87], v[212:215]// 000000006478: D3F300D4 1F52ADCE
	ds_read_b128 a[8:11], v2 offset:512                        // 000000006480: DBFE0200 08000002
	ds_read_b128 a[12:15], v2 offset:576                       // 000000006488: DBFE0240 0C000002
	v_mfma_f32_16x16x32_fp8_fp8 v[176:179], a[192:193], a[88:89], v[176:179]// 000000006490: D3F300B0 1EC2B1C0
	v_mfma_f32_16x16x32_fp8_fp8 v[176:179], a[194:195], a[90:91], v[176:179]// 000000006498: D3F300B0 1EC2B5C2
	buffer_load_dwordx4 a[184:187], v91, s[84:87], 0 offen     // 0000000064A0: E05C1000 8095B85B
	v_mfma_f32_16x16x32_fp8_fp8 v[176:179], a[196:197], a[92:93], v[176:179]// 0000000064A8: D3F300B0 1EC2B9C4
	v_mfma_f32_16x16x32_fp8_fp8 v[176:179], a[198:199], a[94:95], v[176:179]// 0000000064B0: D3F300B0 1EC2BDC6
	ds_read_b128 a[16:19], v2 offset:1024                      // 0000000064B8: DBFE0400 10000002
	ds_read_b128 a[20:23], v2 offset:1088                      // 0000000064C0: DBFE0440 14000002
	v_mfma_f32_16x16x32_fp8_fp8 v[216:219], a[200:201], a[88:89], v[216:219]// 0000000064C8: D3F300D8 1F62B1C8
	v_mfma_f32_16x16x32_fp8_fp8 v[216:219], a[202:203], a[90:91], v[216:219]// 0000000064D0: D3F300D8 1F62B5CA
	buffer_load_dwordx4 a[188:191], v91, s[84:87], 0 offen offset:1024// 0000000064D8: E05C1400 8095BC5B
	v_mfma_f32_16x16x32_fp8_fp8 v[216:219], a[204:205], a[92:93], v[216:219]// 0000000064E0: D3F300D8 1F62B9CC
	v_mfma_f32_16x16x32_fp8_fp8 v[216:219], a[206:207], a[94:95], v[216:219]// 0000000064E8: D3F300D8 1F62BDCE
	ds_read_b128 a[24:27], v2 offset:1536                      // 0000000064F0: DBFE0600 18000002
	ds_read_b128 a[28:31], v2 offset:1600                      // 0000000064F8: DBFE0640 1C000002
	v_mfma_f32_16x16x32_fp8_fp8 v[180:183], a[192:193], a[96:97], v[180:183]// 000000006500: D3F300B4 1ED2C1C0
	v_mfma_f32_16x16x32_fp8_fp8 v[180:183], a[194:195], a[98:99], v[180:183]// 000000006508: D3F300B4 1ED2C5C2
	v_mfma_f32_16x16x32_fp8_fp8 v[180:183], a[196:197], a[100:101], v[180:183]// 000000006510: D3F300B4 1ED2C9C4
	v_mfma_f32_16x16x32_fp8_fp8 v[180:183], a[198:199], a[102:103], v[180:183]// 000000006518: D3F300B4 1ED2CDC6
	ds_read_b128 a[32:35], v2 offset:2048                      // 000000006520: DBFE0800 20000002
	ds_read_b128 a[36:39], v2 offset:2112                      // 000000006528: DBFE0840 24000002
	v_mfma_f32_16x16x32_fp8_fp8 v[220:223], a[200:201], a[96:97], v[220:223]// 000000006530: D3F300DC 1F72C1C8
	v_mfma_f32_16x16x32_fp8_fp8 v[220:223], a[202:203], a[98:99], v[220:223]// 000000006538: D3F300DC 1F72C5CA
	v_mfma_f32_16x16x32_fp8_fp8 v[220:223], a[204:205], a[100:101], v[220:223]// 000000006540: D3F300DC 1F72C9CC
	v_mfma_f32_16x16x32_fp8_fp8 v[220:223], a[206:207], a[102:103], v[220:223]// 000000006548: D3F300DC 1F72CDCE
	ds_read_b128 a[40:43], v2 offset:2560                      // 000000006550: DBFE0A00 28000002
	ds_read_b128 a[44:47], v2 offset:2624                      // 000000006558: DBFE0A40 2C000002
	v_mfma_f32_16x16x32_fp8_fp8 v[184:187], a[192:193], a[104:105], v[184:187]// 000000006560: D3F300B8 1EE2D1C0
	v_mfma_f32_16x16x32_fp8_fp8 v[184:187], a[194:195], a[106:107], v[184:187]// 000000006568: D3F300B8 1EE2D5C2
	v_mfma_f32_16x16x32_fp8_fp8 v[184:187], a[196:197], a[108:109], v[184:187]// 000000006570: D3F300B8 1EE2D9C4
	v_mfma_f32_16x16x32_fp8_fp8 v[184:187], a[198:199], a[110:111], v[184:187]// 000000006578: D3F300B8 1EE2DDC6
	ds_read_b128 a[48:51], v2 offset:3072                      // 000000006580: DBFE0C00 30000002
	ds_read_b128 a[52:55], v2 offset:3136                      // 000000006588: DBFE0C40 34000002
	v_mfma_f32_16x16x32_fp8_fp8 v[224:227], a[200:201], a[104:105], v[224:227]// 000000006590: D3F300E0 1F82D1C8
	v_mfma_f32_16x16x32_fp8_fp8 v[224:227], a[202:203], a[106:107], v[224:227]// 000000006598: D3F300E0 1F82D5CA
	v_mfma_f32_16x16x32_fp8_fp8 v[224:227], a[204:205], a[108:109], v[224:227]// 0000000065A0: D3F300E0 1F82D9CC
	v_mfma_f32_16x16x32_fp8_fp8 v[224:227], a[206:207], a[110:111], v[224:227]// 0000000065A8: D3F300E0 1F82DDCE
	ds_read_b128 a[56:59], v2 offset:3584                      // 0000000065B0: DBFE0E00 38000002
	ds_read_b128 a[60:63], v2 offset:3648                      // 0000000065B8: DBFE0E40 3C000002
	v_mfma_f32_16x16x32_fp8_fp8 v[188:191], a[192:193], a[112:113], v[188:191]// 0000000065C0: D3F300BC 1EF2E1C0
	v_mfma_f32_16x16x32_fp8_fp8 v[188:191], a[194:195], a[114:115], v[188:191]// 0000000065C8: D3F300BC 1EF2E5C2
	v_mfma_f32_16x16x32_fp8_fp8 v[188:191], a[196:197], a[116:117], v[188:191]// 0000000065D0: D3F300BC 1EF2E9C4
	v_mfma_f32_16x16x32_fp8_fp8 v[188:191], a[198:199], a[118:119], v[188:191]// 0000000065D8: D3F300BC 1EF2EDC6
	ds_read_b128 a[64:67], v2 offset:4096                      // 0000000065E0: DBFE1000 40000002
	ds_read_b128 a[68:71], v2 offset:4160                      // 0000000065E8: DBFE1040 44000002
	v_mfma_f32_16x16x32_fp8_fp8 v[228:231], a[200:201], a[112:113], v[228:231]// 0000000065F0: D3F300E4 1F92E1C8
	v_mfma_f32_16x16x32_fp8_fp8 v[228:231], a[202:203], a[114:115], v[228:231]// 0000000065F8: D3F300E4 1F92E5CA
	v_mfma_f32_16x16x32_fp8_fp8 v[228:231], a[204:205], a[116:117], v[228:231]// 000000006600: D3F300E4 1F92E9CC
	v_mfma_f32_16x16x32_fp8_fp8 v[228:231], a[206:207], a[118:119], v[228:231]// 000000006608: D3F300E4 1F92EDCE
	ds_read_b128 a[72:75], v2 offset:4608                      // 000000006610: DBFE1200 48000002
	ds_read_b128 a[76:79], v2 offset:4672                      // 000000006618: DBFE1240 4C000002
	v_mfma_f32_16x16x32_fp8_fp8 v[192:195], a[192:193], a[120:121], v[192:195]// 000000006620: D3F300C0 1F02F1C0
	v_mfma_f32_16x16x32_fp8_fp8 v[192:195], a[194:195], a[122:123], v[192:195]// 000000006628: D3F300C0 1F02F5C2
	v_mfma_f32_16x16x32_fp8_fp8 v[192:195], a[196:197], a[124:125], v[192:195]// 000000006630: D3F300C0 1F02F9C4
	v_mfma_f32_16x16x32_fp8_fp8 v[192:195], a[198:199], a[126:127], v[192:195]// 000000006638: D3F300C0 1F02FDC6
	v_mfma_f32_16x16x32_fp8_fp8 v[232:235], a[200:201], a[120:121], v[232:235]// 000000006640: D3F300E8 1FA2F1C8
	v_mfma_f32_16x16x32_fp8_fp8 v[232:235], a[202:203], a[122:123], v[232:235]// 000000006648: D3F300E8 1FA2F5CA
	v_mfma_f32_16x16x32_fp8_fp8 v[232:235], a[204:205], a[124:125], v[232:235]// 000000006650: D3F300E8 1FA2F9CC
	v_mfma_f32_16x16x32_fp8_fp8 v[232:235], a[206:207], a[126:127], v[232:235]// 000000006658: D3F300E8 1FA2FDCE
	v_mfma_f32_16x16x32_fp8_fp8 v[196:199], a[192:193], a[128:129], v[196:199]// 000000006660: D3F300C4 1F1301C0
	v_mfma_f32_16x16x32_fp8_fp8 v[196:199], a[194:195], a[130:131], v[196:199]// 000000006668: D3F300C4 1F1305C2
	v_mfma_f32_16x16x32_fp8_fp8 v[196:199], a[196:197], a[132:133], v[196:199]// 000000006670: D3F300C4 1F1309C4
	v_mfma_f32_16x16x32_fp8_fp8 v[196:199], a[198:199], a[134:135], v[196:199]// 000000006678: D3F300C4 1F130DC6
	v_mfma_f32_16x16x32_fp8_fp8 v[236:239], a[200:201], a[128:129], v[236:239]// 000000006680: D3F300EC 1FB301C8
	v_mfma_f32_16x16x32_fp8_fp8 v[236:239], a[202:203], a[130:131], v[236:239]// 000000006688: D3F300EC 1FB305CA
	v_mfma_f32_16x16x32_fp8_fp8 v[236:239], a[204:205], a[132:133], v[236:239]// 000000006690: D3F300EC 1FB309CC
	v_mfma_f32_16x16x32_fp8_fp8 v[236:239], a[206:207], a[134:135], v[236:239]// 000000006698: D3F300EC 1FB30DCE
	v_mfma_f32_16x16x32_fp8_fp8 v[200:203], a[192:193], a[136:137], v[200:203]// 0000000066A0: D3F300C8 1F2311C0
	v_mfma_f32_16x16x32_fp8_fp8 v[200:203], a[194:195], a[138:139], v[200:203]// 0000000066A8: D3F300C8 1F2315C2
	v_mfma_f32_16x16x32_fp8_fp8 v[200:203], a[196:197], a[140:141], v[200:203]// 0000000066B0: D3F300C8 1F2319C4
	v_mfma_f32_16x16x32_fp8_fp8 v[200:203], a[198:199], a[142:143], v[200:203]// 0000000066B8: D3F300C8 1F231DC6
	v_mfma_f32_16x16x32_fp8_fp8 v[240:243], a[200:201], a[136:137], v[240:243]// 0000000066C0: D3F300F0 1FC311C8
	v_mfma_f32_16x16x32_fp8_fp8 v[240:243], a[202:203], a[138:139], v[240:243]// 0000000066C8: D3F300F0 1FC315CA
	v_mfma_f32_16x16x32_fp8_fp8 v[240:243], a[204:205], a[140:141], v[240:243]// 0000000066D0: D3F300F0 1FC319CC
	v_mfma_f32_16x16x32_fp8_fp8 v[240:243], a[206:207], a[142:143], v[240:243]// 0000000066D8: D3F300F0 1FC31DCE
	v_mfma_f32_16x16x32_fp8_fp8 v[204:207], a[192:193], a[144:145], v[204:207]// 0000000066E0: D3F300CC 1F3321C0
	v_mfma_f32_16x16x32_fp8_fp8 v[204:207], a[194:195], a[146:147], v[204:207]// 0000000066E8: D3F300CC 1F3325C2
	v_mfma_f32_16x16x32_fp8_fp8 v[204:207], a[196:197], a[148:149], v[204:207]// 0000000066F0: D3F300CC 1F3329C4
	v_mfma_f32_16x16x32_fp8_fp8 v[204:207], a[198:199], a[150:151], v[204:207]// 0000000066F8: D3F300CC 1F332DC6
	v_mfma_f32_16x16x32_fp8_fp8 v[244:247], a[200:201], a[144:145], v[244:247]// 000000006700: D3F300F4 1FD321C8
	v_mfma_f32_16x16x32_fp8_fp8 v[244:247], a[202:203], a[146:147], v[244:247]// 000000006708: D3F300F4 1FD325CA
	v_mfma_f32_16x16x32_fp8_fp8 v[244:247], a[204:205], a[148:149], v[244:247]// 000000006710: D3F300F4 1FD329CC
	v_mfma_f32_16x16x32_fp8_fp8 v[244:247], a[206:207], a[150:151], v[244:247]// 000000006718: D3F300F4 1FD32DCE
	v_mfma_f32_16x16x32_fp8_fp8 v[208:211], a[192:193], a[152:153], v[208:211]// 000000006720: D3F300D0 1F4331C0
	s_add_u32 s60, 0x180, s80                                  // 000000006728: 803C50FF 00000180
	s_cmp_lt_u32 s60, s81                                      // 000000006730: BF0A513C
	s_cselect_b32 s57, s57, 0                                  // 000000006734: 85398039
	v_mfma_f32_16x16x32_fp8_fp8 v[208:211], a[194:195], a[154:155], v[208:211]// 000000006738: D3F300D0 1F4335C2
	s_add_u32 s60, 0x100, s80                                  // 000000006740: 803C50FF 00000100
	s_cmp_lt_u32 s60, s81                                      // 000000006748: BF0A513C
	s_cselect_b32 s58, s58, 0                                  // 00000000674C: 853A803A
	v_mfma_f32_16x16x32_fp8_fp8 v[208:211], a[196:197], a[156:157], v[208:211]// 000000006750: D3F300D0 1F4339C4
	s_add_u32 s60, 0x100, s80                                  // 000000006758: 803C50FF 00000100
	s_cmp_lt_u32 s60, s81                                      // 000000006760: BF0A513C
	s_cselect_b32 s83, s83, 0                                  // 000000006764: 85538053
	v_mfma_f32_16x16x32_fp8_fp8 v[208:211], a[198:199], a[158:159], v[208:211]// 000000006768: D3F300D0 1F433DC6
	s_add_u32 s24, s58, s24                                    // 000000006770: 8018183A
	s_addc_u32 s25, 0, s25                                     // 000000006774: 82191980
	v_mfma_f32_16x16x32_fp8_fp8 v[248:251], a[200:201], a[152:153], v[248:251]// 000000006778: D3F300F8 1FE331C8
	s_add_u32 s20, s57, s20                                    // 000000006780: 80141439
	s_addc_u32 s21, 0, s21                                     // 000000006784: 82151580
	v_mfma_f32_16x16x32_fp8_fp8 v[248:251], a[202:203], a[154:155], v[248:251]// 000000006788: D3F300F8 1FE335CA
	s_add_u32 s84, s83, s84                                    // 000000006790: 80545453
	s_addc_u32 s85, 0, s85                                     // 000000006794: 82555580
	v_mfma_f32_16x16x32_fp8_fp8 v[248:251], a[204:205], a[156:157], v[248:251]// 000000006798: D3F300F8 1FE339CC
	v_mfma_f32_16x16x32_fp8_fp8 v[248:251], a[206:207], a[158:159], v[248:251]// 0000000067A0: D3F300F8 1FE33DCE
	s_addk_i32 s80, 0x80                                       // 0000000067A8: B7500080
	s_cmp_lt_i32 s80, s81                                      // 0000000067AC: BF045150
	s_cbranch_scc0 label_0F6E                                  // 0000000067B0: BF840001
	s_branch label_0433                                        // 0000000067B4: BF82F4C5

00000000000067b8 <label_0F6E>:
	v_mul_f32_dpp v92, v24, v92 row_newbcast:0 row_mask:0xf bank_mask:0xf// 0000000067B8: 0AB8B8FA FF015018
	v_mul_f32_dpp v93, v24, v93 row_newbcast:1 row_mask:0xf bank_mask:0xf// 0000000067C0: 0ABABAFA FF015118
	v_mul_f32_dpp v94, v24, v94 row_newbcast:2 row_mask:0xf bank_mask:0xf// 0000000067C8: 0ABCBCFA FF015218
	v_mul_f32_dpp v95, v24, v95 row_newbcast:3 row_mask:0xf bank_mask:0xf// 0000000067D0: 0ABEBEFA FF015318
	v_mul_f32_dpp v96, v24, v96 row_newbcast:0 row_mask:0xf bank_mask:0xf// 0000000067D8: 0AC0C0FA FF015018
	v_mul_f32_dpp v97, v24, v97 row_newbcast:1 row_mask:0xf bank_mask:0xf// 0000000067E0: 0AC2C2FA FF015118
	v_mul_f32_dpp v98, v24, v98 row_newbcast:2 row_mask:0xf bank_mask:0xf// 0000000067E8: 0AC4C4FA FF015218
	v_mul_f32_dpp v99, v24, v99 row_newbcast:3 row_mask:0xf bank_mask:0xf// 0000000067F0: 0AC6C6FA FF015318
	v_mul_f32_dpp v100, v24, v100 row_newbcast:0 row_mask:0xf bank_mask:0xf// 0000000067F8: 0AC8C8FA FF015018
	v_mul_f32_dpp v101, v24, v101 row_newbcast:1 row_mask:0xf bank_mask:0xf// 000000006800: 0ACACAFA FF015118
	v_mul_f32_dpp v102, v24, v102 row_newbcast:2 row_mask:0xf bank_mask:0xf// 000000006808: 0ACCCCFA FF015218
	v_mul_f32_dpp v103, v24, v103 row_newbcast:3 row_mask:0xf bank_mask:0xf// 000000006810: 0ACECEFA FF015318
	v_mul_f32_dpp v104, v24, v104 row_newbcast:0 row_mask:0xf bank_mask:0xf// 000000006818: 0AD0D0FA FF015018
	v_mul_f32_dpp v105, v24, v105 row_newbcast:1 row_mask:0xf bank_mask:0xf// 000000006820: 0AD2D2FA FF015118
	v_mul_f32_dpp v106, v24, v106 row_newbcast:2 row_mask:0xf bank_mask:0xf// 000000006828: 0AD4D4FA FF015218
	v_mul_f32_dpp v107, v24, v107 row_newbcast:3 row_mask:0xf bank_mask:0xf// 000000006830: 0AD6D6FA FF015318
	v_mul_f32_dpp v108, v24, v108 row_newbcast:0 row_mask:0xf bank_mask:0xf// 000000006838: 0AD8D8FA FF015018
	v_mul_f32_dpp v109, v24, v109 row_newbcast:1 row_mask:0xf bank_mask:0xf// 000000006840: 0ADADAFA FF015118
	v_mul_f32_dpp v110, v24, v110 row_newbcast:2 row_mask:0xf bank_mask:0xf// 000000006848: 0ADCDCFA FF015218
	v_mul_f32_dpp v111, v24, v111 row_newbcast:3 row_mask:0xf bank_mask:0xf// 000000006850: 0ADEDEFA FF015318
	v_mul_f32_dpp v112, v24, v112 row_newbcast:0 row_mask:0xf bank_mask:0xf// 000000006858: 0AE0E0FA FF015018
	v_mul_f32_dpp v113, v24, v113 row_newbcast:1 row_mask:0xf bank_mask:0xf// 000000006860: 0AE2E2FA FF015118
	v_mul_f32_dpp v114, v24, v114 row_newbcast:2 row_mask:0xf bank_mask:0xf// 000000006868: 0AE4E4FA FF015218
	v_mul_f32_dpp v115, v24, v115 row_newbcast:3 row_mask:0xf bank_mask:0xf// 000000006870: 0AE6E6FA FF015318
	v_mul_f32_dpp v116, v24, v116 row_newbcast:0 row_mask:0xf bank_mask:0xf// 000000006878: 0AE8E8FA FF015018
	v_mul_f32_dpp v117, v24, v117 row_newbcast:1 row_mask:0xf bank_mask:0xf// 000000006880: 0AEAEAFA FF015118
	v_mul_f32_dpp v118, v24, v118 row_newbcast:2 row_mask:0xf bank_mask:0xf// 000000006888: 0AECECFA FF015218
	v_mul_f32_dpp v119, v24, v119 row_newbcast:3 row_mask:0xf bank_mask:0xf// 000000006890: 0AEEEEFA FF015318
	v_mul_f32_dpp v120, v24, v120 row_newbcast:0 row_mask:0xf bank_mask:0xf// 000000006898: 0AF0F0FA FF015018
	v_mul_f32_dpp v121, v24, v121 row_newbcast:1 row_mask:0xf bank_mask:0xf// 0000000068A0: 0AF2F2FA FF015118
	v_mul_f32_dpp v122, v24, v122 row_newbcast:2 row_mask:0xf bank_mask:0xf// 0000000068A8: 0AF4F4FA FF015218
	v_mul_f32_dpp v123, v24, v123 row_newbcast:3 row_mask:0xf bank_mask:0xf// 0000000068B0: 0AF6F6FA FF015318
	v_mul_f32_dpp v124, v24, v124 row_newbcast:0 row_mask:0xf bank_mask:0xf// 0000000068B8: 0AF8F8FA FF015018
	v_mul_f32_dpp v125, v24, v125 row_newbcast:1 row_mask:0xf bank_mask:0xf// 0000000068C0: 0AFAFAFA FF015118
	v_mul_f32_dpp v126, v24, v126 row_newbcast:2 row_mask:0xf bank_mask:0xf// 0000000068C8: 0AFCFCFA FF015218
	v_mul_f32_dpp v127, v24, v127 row_newbcast:3 row_mask:0xf bank_mask:0xf// 0000000068D0: 0AFEFEFA FF015318
	v_mul_f32_dpp v128, v24, v128 row_newbcast:0 row_mask:0xf bank_mask:0xf// 0000000068D8: 0B0100FA FF015018
	v_mul_f32_dpp v129, v24, v129 row_newbcast:1 row_mask:0xf bank_mask:0xf// 0000000068E0: 0B0302FA FF015118
	v_mul_f32_dpp v130, v24, v130 row_newbcast:2 row_mask:0xf bank_mask:0xf// 0000000068E8: 0B0504FA FF015218
	v_mul_f32_dpp v131, v24, v131 row_newbcast:3 row_mask:0xf bank_mask:0xf// 0000000068F0: 0B0706FA FF015318
	v_mul_f32_dpp v132, v24, v132 row_newbcast:4 row_mask:0xf bank_mask:0xf// 0000000068F8: 0B0908FA FF015418
	v_mul_f32_dpp v133, v24, v133 row_newbcast:5 row_mask:0xf bank_mask:0xf// 000000006900: 0B0B0AFA FF015518
	v_mul_f32_dpp v134, v24, v134 row_newbcast:6 row_mask:0xf bank_mask:0xf// 000000006908: 0B0D0CFA FF015618
	v_mul_f32_dpp v135, v24, v135 row_newbcast:7 row_mask:0xf bank_mask:0xf// 000000006910: 0B0F0EFA FF015718
	v_mul_f32_dpp v136, v24, v136 row_newbcast:4 row_mask:0xf bank_mask:0xf// 000000006918: 0B1110FA FF015418
	v_mul_f32_dpp v137, v24, v137 row_newbcast:5 row_mask:0xf bank_mask:0xf// 000000006920: 0B1312FA FF015518
	v_mul_f32_dpp v138, v24, v138 row_newbcast:6 row_mask:0xf bank_mask:0xf// 000000006928: 0B1514FA FF015618
	v_mul_f32_dpp v139, v24, v139 row_newbcast:7 row_mask:0xf bank_mask:0xf// 000000006930: 0B1716FA FF015718
	v_mul_f32_dpp v140, v24, v140 row_newbcast:4 row_mask:0xf bank_mask:0xf// 000000006938: 0B1918FA FF015418
	v_mul_f32_dpp v141, v24, v141 row_newbcast:5 row_mask:0xf bank_mask:0xf// 000000006940: 0B1B1AFA FF015518
	v_mul_f32_dpp v142, v24, v142 row_newbcast:6 row_mask:0xf bank_mask:0xf// 000000006948: 0B1D1CFA FF015618
	v_mul_f32_dpp v143, v24, v143 row_newbcast:7 row_mask:0xf bank_mask:0xf// 000000006950: 0B1F1EFA FF015718
	v_mul_f32_dpp v144, v24, v144 row_newbcast:4 row_mask:0xf bank_mask:0xf// 000000006958: 0B2120FA FF015418
	v_mul_f32_dpp v145, v24, v145 row_newbcast:5 row_mask:0xf bank_mask:0xf// 000000006960: 0B2322FA FF015518
	v_mul_f32_dpp v146, v24, v146 row_newbcast:6 row_mask:0xf bank_mask:0xf// 000000006968: 0B2524FA FF015618
	v_mul_f32_dpp v147, v24, v147 row_newbcast:7 row_mask:0xf bank_mask:0xf// 000000006970: 0B2726FA FF015718
	v_mul_f32_dpp v148, v24, v148 row_newbcast:4 row_mask:0xf bank_mask:0xf// 000000006978: 0B2928FA FF015418
	v_mul_f32_dpp v149, v24, v149 row_newbcast:5 row_mask:0xf bank_mask:0xf// 000000006980: 0B2B2AFA FF015518
	v_mul_f32_dpp v150, v24, v150 row_newbcast:6 row_mask:0xf bank_mask:0xf// 000000006988: 0B2D2CFA FF015618
	v_mul_f32_dpp v151, v24, v151 row_newbcast:7 row_mask:0xf bank_mask:0xf// 000000006990: 0B2F2EFA FF015718
	v_mul_f32_dpp v152, v24, v152 row_newbcast:4 row_mask:0xf bank_mask:0xf// 000000006998: 0B3130FA FF015418
	v_mul_f32_dpp v153, v24, v153 row_newbcast:5 row_mask:0xf bank_mask:0xf// 0000000069A0: 0B3332FA FF015518
	v_mul_f32_dpp v154, v24, v154 row_newbcast:6 row_mask:0xf bank_mask:0xf// 0000000069A8: 0B3534FA FF015618
	v_mul_f32_dpp v155, v24, v155 row_newbcast:7 row_mask:0xf bank_mask:0xf// 0000000069B0: 0B3736FA FF015718
	v_mul_f32_dpp v156, v24, v156 row_newbcast:4 row_mask:0xf bank_mask:0xf// 0000000069B8: 0B3938FA FF015418
	v_mul_f32_dpp v157, v24, v157 row_newbcast:5 row_mask:0xf bank_mask:0xf// 0000000069C0: 0B3B3AFA FF015518
	v_mul_f32_dpp v158, v24, v158 row_newbcast:6 row_mask:0xf bank_mask:0xf// 0000000069C8: 0B3D3CFA FF015618
	v_mul_f32_dpp v159, v24, v159 row_newbcast:7 row_mask:0xf bank_mask:0xf// 0000000069D0: 0B3F3EFA FF015718
	v_mul_f32_dpp v160, v24, v160 row_newbcast:4 row_mask:0xf bank_mask:0xf// 0000000069D8: 0B4140FA FF015418
	v_mul_f32_dpp v161, v24, v161 row_newbcast:5 row_mask:0xf bank_mask:0xf// 0000000069E0: 0B4342FA FF015518
	v_mul_f32_dpp v162, v24, v162 row_newbcast:6 row_mask:0xf bank_mask:0xf// 0000000069E8: 0B4544FA FF015618
	v_mul_f32_dpp v163, v24, v163 row_newbcast:7 row_mask:0xf bank_mask:0xf// 0000000069F0: 0B4746FA FF015718
	v_mul_f32_dpp v164, v24, v164 row_newbcast:4 row_mask:0xf bank_mask:0xf// 0000000069F8: 0B4948FA FF015418
	v_mul_f32_dpp v165, v24, v165 row_newbcast:5 row_mask:0xf bank_mask:0xf// 000000006A00: 0B4B4AFA FF015518
	v_mul_f32_dpp v166, v24, v166 row_newbcast:6 row_mask:0xf bank_mask:0xf// 000000006A08: 0B4D4CFA FF015618
	v_mul_f32_dpp v167, v24, v167 row_newbcast:7 row_mask:0xf bank_mask:0xf// 000000006A10: 0B4F4EFA FF015718
	v_mul_f32_dpp v168, v24, v168 row_newbcast:4 row_mask:0xf bank_mask:0xf// 000000006A18: 0B5150FA FF015418
	v_mul_f32_dpp v169, v24, v169 row_newbcast:5 row_mask:0xf bank_mask:0xf// 000000006A20: 0B5352FA FF015518
	v_mul_f32_dpp v170, v24, v170 row_newbcast:6 row_mask:0xf bank_mask:0xf// 000000006A28: 0B5554FA FF015618
	v_mul_f32_dpp v171, v24, v171 row_newbcast:7 row_mask:0xf bank_mask:0xf// 000000006A30: 0B5756FA FF015718
	v_mul_f32_dpp v172, v27, v172 row_newbcast:0 row_mask:0xf bank_mask:0xf// 000000006A38: 0B5958FA FF01501B
	v_mul_f32_dpp v173, v27, v173 row_newbcast:1 row_mask:0xf bank_mask:0xf// 000000006A40: 0B5B5AFA FF01511B
	v_mul_f32_dpp v174, v27, v174 row_newbcast:2 row_mask:0xf bank_mask:0xf// 000000006A48: 0B5D5CFA FF01521B
	v_mul_f32_dpp v175, v27, v175 row_newbcast:3 row_mask:0xf bank_mask:0xf// 000000006A50: 0B5F5EFA FF01531B
	v_mul_f32_dpp v176, v27, v176 row_newbcast:0 row_mask:0xf bank_mask:0xf// 000000006A58: 0B6160FA FF01501B
	v_mul_f32_dpp v177, v27, v177 row_newbcast:1 row_mask:0xf bank_mask:0xf// 000000006A60: 0B6362FA FF01511B
	v_mul_f32_dpp v178, v27, v178 row_newbcast:2 row_mask:0xf bank_mask:0xf// 000000006A68: 0B6564FA FF01521B
	v_mul_f32_dpp v179, v27, v179 row_newbcast:3 row_mask:0xf bank_mask:0xf// 000000006A70: 0B6766FA FF01531B
	v_mul_f32_dpp v180, v27, v180 row_newbcast:0 row_mask:0xf bank_mask:0xf// 000000006A78: 0B6968FA FF01501B
	v_mul_f32_dpp v181, v27, v181 row_newbcast:1 row_mask:0xf bank_mask:0xf// 000000006A80: 0B6B6AFA FF01511B
	v_mul_f32_dpp v182, v27, v182 row_newbcast:2 row_mask:0xf bank_mask:0xf// 000000006A88: 0B6D6CFA FF01521B
	v_mul_f32_dpp v183, v27, v183 row_newbcast:3 row_mask:0xf bank_mask:0xf// 000000006A90: 0B6F6EFA FF01531B
	v_mul_f32_dpp v184, v27, v184 row_newbcast:0 row_mask:0xf bank_mask:0xf// 000000006A98: 0B7170FA FF01501B
	v_mul_f32_dpp v185, v27, v185 row_newbcast:1 row_mask:0xf bank_mask:0xf// 000000006AA0: 0B7372FA FF01511B
	v_mul_f32_dpp v186, v27, v186 row_newbcast:2 row_mask:0xf bank_mask:0xf// 000000006AA8: 0B7574FA FF01521B
	v_mul_f32_dpp v187, v27, v187 row_newbcast:3 row_mask:0xf bank_mask:0xf// 000000006AB0: 0B7776FA FF01531B
	v_mul_f32_dpp v188, v27, v188 row_newbcast:0 row_mask:0xf bank_mask:0xf// 000000006AB8: 0B7978FA FF01501B
	v_mul_f32_dpp v189, v27, v189 row_newbcast:1 row_mask:0xf bank_mask:0xf// 000000006AC0: 0B7B7AFA FF01511B
	v_mul_f32_dpp v190, v27, v190 row_newbcast:2 row_mask:0xf bank_mask:0xf// 000000006AC8: 0B7D7CFA FF01521B
	v_mul_f32_dpp v191, v27, v191 row_newbcast:3 row_mask:0xf bank_mask:0xf// 000000006AD0: 0B7F7EFA FF01531B
	v_mul_f32_dpp v192, v27, v192 row_newbcast:0 row_mask:0xf bank_mask:0xf// 000000006AD8: 0B8180FA FF01501B
	v_mul_f32_dpp v193, v27, v193 row_newbcast:1 row_mask:0xf bank_mask:0xf// 000000006AE0: 0B8382FA FF01511B
	v_mul_f32_dpp v194, v27, v194 row_newbcast:2 row_mask:0xf bank_mask:0xf// 000000006AE8: 0B8584FA FF01521B
	v_mul_f32_dpp v195, v27, v195 row_newbcast:3 row_mask:0xf bank_mask:0xf// 000000006AF0: 0B8786FA FF01531B
	v_mul_f32_dpp v196, v27, v196 row_newbcast:0 row_mask:0xf bank_mask:0xf// 000000006AF8: 0B8988FA FF01501B
	v_mul_f32_dpp v197, v27, v197 row_newbcast:1 row_mask:0xf bank_mask:0xf// 000000006B00: 0B8B8AFA FF01511B
	v_mul_f32_dpp v198, v27, v198 row_newbcast:2 row_mask:0xf bank_mask:0xf// 000000006B08: 0B8D8CFA FF01521B
	v_mul_f32_dpp v199, v27, v199 row_newbcast:3 row_mask:0xf bank_mask:0xf// 000000006B10: 0B8F8EFA FF01531B
	v_mul_f32_dpp v200, v27, v200 row_newbcast:0 row_mask:0xf bank_mask:0xf// 000000006B18: 0B9190FA FF01501B
	v_mul_f32_dpp v201, v27, v201 row_newbcast:1 row_mask:0xf bank_mask:0xf// 000000006B20: 0B9392FA FF01511B
	v_mul_f32_dpp v202, v27, v202 row_newbcast:2 row_mask:0xf bank_mask:0xf// 000000006B28: 0B9594FA FF01521B
	v_mul_f32_dpp v203, v27, v203 row_newbcast:3 row_mask:0xf bank_mask:0xf// 000000006B30: 0B9796FA FF01531B
	v_mul_f32_dpp v204, v27, v204 row_newbcast:0 row_mask:0xf bank_mask:0xf// 000000006B38: 0B9998FA FF01501B
	v_mul_f32_dpp v205, v27, v205 row_newbcast:1 row_mask:0xf bank_mask:0xf// 000000006B40: 0B9B9AFA FF01511B
	v_mul_f32_dpp v206, v27, v206 row_newbcast:2 row_mask:0xf bank_mask:0xf// 000000006B48: 0B9D9CFA FF01521B
	v_mul_f32_dpp v207, v27, v207 row_newbcast:3 row_mask:0xf bank_mask:0xf// 000000006B50: 0B9F9EFA FF01531B
	v_mul_f32_dpp v208, v27, v208 row_newbcast:0 row_mask:0xf bank_mask:0xf// 000000006B58: 0BA1A0FA FF01501B
	v_mul_f32_dpp v209, v27, v209 row_newbcast:1 row_mask:0xf bank_mask:0xf// 000000006B60: 0BA3A2FA FF01511B
	v_mul_f32_dpp v210, v27, v210 row_newbcast:2 row_mask:0xf bank_mask:0xf// 000000006B68: 0BA5A4FA FF01521B
	v_mul_f32_dpp v211, v27, v211 row_newbcast:3 row_mask:0xf bank_mask:0xf// 000000006B70: 0BA7A6FA FF01531B
	v_mul_f32_dpp v212, v27, v212 row_newbcast:4 row_mask:0xf bank_mask:0xf// 000000006B78: 0BA9A8FA FF01541B
	v_mul_f32_dpp v213, v27, v213 row_newbcast:5 row_mask:0xf bank_mask:0xf// 000000006B80: 0BABAAFA FF01551B
	v_mul_f32_dpp v214, v27, v214 row_newbcast:6 row_mask:0xf bank_mask:0xf// 000000006B88: 0BADACFA FF01561B
	v_mul_f32_dpp v215, v27, v215 row_newbcast:7 row_mask:0xf bank_mask:0xf// 000000006B90: 0BAFAEFA FF01571B
	v_mul_f32_dpp v216, v27, v216 row_newbcast:4 row_mask:0xf bank_mask:0xf// 000000006B98: 0BB1B0FA FF01541B
	v_mul_f32_dpp v217, v27, v217 row_newbcast:5 row_mask:0xf bank_mask:0xf// 000000006BA0: 0BB3B2FA FF01551B
	v_mul_f32_dpp v218, v27, v218 row_newbcast:6 row_mask:0xf bank_mask:0xf// 000000006BA8: 0BB5B4FA FF01561B
	v_mul_f32_dpp v219, v27, v219 row_newbcast:7 row_mask:0xf bank_mask:0xf// 000000006BB0: 0BB7B6FA FF01571B
	v_mul_f32_dpp v220, v27, v220 row_newbcast:4 row_mask:0xf bank_mask:0xf// 000000006BB8: 0BB9B8FA FF01541B
	v_mul_f32_dpp v221, v27, v221 row_newbcast:5 row_mask:0xf bank_mask:0xf// 000000006BC0: 0BBBBAFA FF01551B
	v_mul_f32_dpp v222, v27, v222 row_newbcast:6 row_mask:0xf bank_mask:0xf// 000000006BC8: 0BBDBCFA FF01561B
	v_mul_f32_dpp v223, v27, v223 row_newbcast:7 row_mask:0xf bank_mask:0xf// 000000006BD0: 0BBFBEFA FF01571B
	v_mul_f32_dpp v224, v27, v224 row_newbcast:4 row_mask:0xf bank_mask:0xf// 000000006BD8: 0BC1C0FA FF01541B
	v_mul_f32_dpp v225, v27, v225 row_newbcast:5 row_mask:0xf bank_mask:0xf// 000000006BE0: 0BC3C2FA FF01551B
	v_mul_f32_dpp v226, v27, v226 row_newbcast:6 row_mask:0xf bank_mask:0xf// 000000006BE8: 0BC5C4FA FF01561B
	v_mul_f32_dpp v227, v27, v227 row_newbcast:7 row_mask:0xf bank_mask:0xf// 000000006BF0: 0BC7C6FA FF01571B
	v_mul_f32_dpp v228, v27, v228 row_newbcast:4 row_mask:0xf bank_mask:0xf// 000000006BF8: 0BC9C8FA FF01541B
	v_mul_f32_dpp v229, v27, v229 row_newbcast:5 row_mask:0xf bank_mask:0xf// 000000006C00: 0BCBCAFA FF01551B
	v_mul_f32_dpp v230, v27, v230 row_newbcast:6 row_mask:0xf bank_mask:0xf// 000000006C08: 0BCDCCFA FF01561B
	v_mul_f32_dpp v231, v27, v231 row_newbcast:7 row_mask:0xf bank_mask:0xf// 000000006C10: 0BCFCEFA FF01571B
	v_mul_f32_dpp v232, v27, v232 row_newbcast:4 row_mask:0xf bank_mask:0xf// 000000006C18: 0BD1D0FA FF01541B
	v_mul_f32_dpp v233, v27, v233 row_newbcast:5 row_mask:0xf bank_mask:0xf// 000000006C20: 0BD3D2FA FF01551B
	v_mul_f32_dpp v234, v27, v234 row_newbcast:6 row_mask:0xf bank_mask:0xf// 000000006C28: 0BD5D4FA FF01561B
	v_mul_f32_dpp v235, v27, v235 row_newbcast:7 row_mask:0xf bank_mask:0xf// 000000006C30: 0BD7D6FA FF01571B
	v_mul_f32_dpp v236, v27, v236 row_newbcast:4 row_mask:0xf bank_mask:0xf// 000000006C38: 0BD9D8FA FF01541B
	v_mul_f32_dpp v237, v27, v237 row_newbcast:5 row_mask:0xf bank_mask:0xf// 000000006C40: 0BDBDAFA FF01551B
	v_mul_f32_dpp v238, v27, v238 row_newbcast:6 row_mask:0xf bank_mask:0xf// 000000006C48: 0BDDDCFA FF01561B
	v_mul_f32_dpp v239, v27, v239 row_newbcast:7 row_mask:0xf bank_mask:0xf// 000000006C50: 0BDFDEFA FF01571B
	v_mul_f32_dpp v240, v27, v240 row_newbcast:4 row_mask:0xf bank_mask:0xf// 000000006C58: 0BE1E0FA FF01541B
	v_mul_f32_dpp v241, v27, v241 row_newbcast:5 row_mask:0xf bank_mask:0xf// 000000006C60: 0BE3E2FA FF01551B
	v_mul_f32_dpp v242, v27, v242 row_newbcast:6 row_mask:0xf bank_mask:0xf// 000000006C68: 0BE5E4FA FF01561B
	v_mul_f32_dpp v243, v27, v243 row_newbcast:7 row_mask:0xf bank_mask:0xf// 000000006C70: 0BE7E6FA FF01571B
	v_mul_f32_dpp v244, v27, v244 row_newbcast:4 row_mask:0xf bank_mask:0xf// 000000006C78: 0BE9E8FA FF01541B
	v_mul_f32_dpp v245, v27, v245 row_newbcast:5 row_mask:0xf bank_mask:0xf// 000000006C80: 0BEBEAFA FF01551B
	v_mul_f32_dpp v246, v27, v246 row_newbcast:6 row_mask:0xf bank_mask:0xf// 000000006C88: 0BEDECFA FF01561B
	v_mul_f32_dpp v247, v27, v247 row_newbcast:7 row_mask:0xf bank_mask:0xf// 000000006C90: 0BEFEEFA FF01571B
	v_mul_f32_dpp v248, v27, v248 row_newbcast:4 row_mask:0xf bank_mask:0xf// 000000006C98: 0BF1F0FA FF01541B
	v_mul_f32_dpp v249, v27, v249 row_newbcast:5 row_mask:0xf bank_mask:0xf// 000000006CA0: 0BF3F2FA FF01551B
	v_mul_f32_dpp v250, v27, v250 row_newbcast:6 row_mask:0xf bank_mask:0xf// 000000006CA8: 0BF5F4FA FF01561B
	v_mul_f32_dpp v251, v27, v251 row_newbcast:7 row_mask:0xf bank_mask:0xf// 000000006CB0: 0BF7F6FA FF01571B
	v_mov_b32_e32 v4, v40                                      // 000000006CB8: 7E080328
	v_mov_b32_e32 v5, v4                                       // 000000006CBC: 7E0A0304
	v_pk_mul_f32 v[92:93], v[4:5], v[92:93]                    // 000000006CC0: D3B1405C 1802B904
	v_pk_mul_f32 v[172:173], v[4:5], v[172:173]                // 000000006CC8: D3B140AC 18035904
	v_pk_mul_f32 v[94:95], v[4:5], v[94:95]                    // 000000006CD0: D3B1405E 1802BD04
	v_pk_mul_f32 v[174:175], v[4:5], v[174:175]                // 000000006CD8: D3B140AE 18035D04
	v_pk_mul_f32 v[132:133], v[4:5], v[132:133]                // 000000006CE0: D3B14084 18030904
	v_pk_mul_f32 v[212:213], v[4:5], v[212:213]                // 000000006CE8: D3B140D4 1803A904
	v_pk_mul_f32 v[134:135], v[4:5], v[134:135]                // 000000006CF0: D3B14086 18030D04
	v_pk_mul_f32 v[214:215], v[4:5], v[214:215]                // 000000006CF8: D3B140D6 1803AD04
	v_mov_b32_e32 v4, v41                                      // 000000006D00: 7E080329
	v_mov_b32_e32 v5, v4                                       // 000000006D04: 7E0A0304
	v_pk_mul_f32 v[96:97], v[4:5], v[96:97]                    // 000000006D08: D3B14060 1802C104
	v_pk_mul_f32 v[176:177], v[4:5], v[176:177]                // 000000006D10: D3B140B0 18036104
	v_pk_mul_f32 v[98:99], v[4:5], v[98:99]                    // 000000006D18: D3B14062 1802C504
	v_pk_mul_f32 v[178:179], v[4:5], v[178:179]                // 000000006D20: D3B140B2 18036504
	v_pk_mul_f32 v[136:137], v[4:5], v[136:137]                // 000000006D28: D3B14088 18031104
	v_pk_mul_f32 v[216:217], v[4:5], v[216:217]                // 000000006D30: D3B140D8 1803B104
	v_pk_mul_f32 v[138:139], v[4:5], v[138:139]                // 000000006D38: D3B1408A 18031504
	v_pk_mul_f32 v[218:219], v[4:5], v[218:219]                // 000000006D40: D3B140DA 1803B504
	v_mov_b32_e32 v4, v42                                      // 000000006D48: 7E08032A
	v_mov_b32_e32 v5, v4                                       // 000000006D4C: 7E0A0304
	v_pk_mul_f32 v[100:101], v[4:5], v[100:101]                // 000000006D50: D3B14064 1802C904
	v_pk_mul_f32 v[180:181], v[4:5], v[180:181]                // 000000006D58: D3B140B4 18036904
	v_pk_mul_f32 v[102:103], v[4:5], v[102:103]                // 000000006D60: D3B14066 1802CD04
	v_pk_mul_f32 v[182:183], v[4:5], v[182:183]                // 000000006D68: D3B140B6 18036D04
	v_pk_mul_f32 v[140:141], v[4:5], v[140:141]                // 000000006D70: D3B1408C 18031904
	v_pk_mul_f32 v[220:221], v[4:5], v[220:221]                // 000000006D78: D3B140DC 1803B904
	v_pk_mul_f32 v[142:143], v[4:5], v[142:143]                // 000000006D80: D3B1408E 18031D04
	v_pk_mul_f32 v[222:223], v[4:5], v[222:223]                // 000000006D88: D3B140DE 1803BD04
	v_mov_b32_e32 v4, v43                                      // 000000006D90: 7E08032B
	v_mov_b32_e32 v5, v4                                       // 000000006D94: 7E0A0304
	v_pk_mul_f32 v[104:105], v[4:5], v[104:105]                // 000000006D98: D3B14068 1802D104
	v_pk_mul_f32 v[184:185], v[4:5], v[184:185]                // 000000006DA0: D3B140B8 18037104
	v_pk_mul_f32 v[106:107], v[4:5], v[106:107]                // 000000006DA8: D3B1406A 1802D504
	v_pk_mul_f32 v[186:187], v[4:5], v[186:187]                // 000000006DB0: D3B140BA 18037504
	v_pk_mul_f32 v[144:145], v[4:5], v[144:145]                // 000000006DB8: D3B14090 18032104
	v_pk_mul_f32 v[224:225], v[4:5], v[224:225]                // 000000006DC0: D3B140E0 1803C104
	v_pk_mul_f32 v[146:147], v[4:5], v[146:147]                // 000000006DC8: D3B14092 18032504
	v_pk_mul_f32 v[226:227], v[4:5], v[226:227]                // 000000006DD0: D3B140E2 1803C504
	v_mov_b32_e32 v4, v44                                      // 000000006DD8: 7E08032C
	v_mov_b32_e32 v5, v4                                       // 000000006DDC: 7E0A0304
	v_pk_mul_f32 v[108:109], v[4:5], v[108:109]                // 000000006DE0: D3B1406C 1802D904
	v_pk_mul_f32 v[188:189], v[4:5], v[188:189]                // 000000006DE8: D3B140BC 18037904
	v_pk_mul_f32 v[110:111], v[4:5], v[110:111]                // 000000006DF0: D3B1406E 1802DD04
	v_pk_mul_f32 v[190:191], v[4:5], v[190:191]                // 000000006DF8: D3B140BE 18037D04
	v_pk_mul_f32 v[148:149], v[4:5], v[148:149]                // 000000006E00: D3B14094 18032904
	v_pk_mul_f32 v[228:229], v[4:5], v[228:229]                // 000000006E08: D3B140E4 1803C904
	v_pk_mul_f32 v[150:151], v[4:5], v[150:151]                // 000000006E10: D3B14096 18032D04
	v_pk_mul_f32 v[230:231], v[4:5], v[230:231]                // 000000006E18: D3B140E6 1803CD04
	v_mov_b32_e32 v4, v45                                      // 000000006E20: 7E08032D
	v_mov_b32_e32 v5, v4                                       // 000000006E24: 7E0A0304
	v_pk_mul_f32 v[112:113], v[4:5], v[112:113]                // 000000006E28: D3B14070 1802E104
	v_pk_mul_f32 v[192:193], v[4:5], v[192:193]                // 000000006E30: D3B140C0 18038104
	v_pk_mul_f32 v[114:115], v[4:5], v[114:115]                // 000000006E38: D3B14072 1802E504
	v_pk_mul_f32 v[194:195], v[4:5], v[194:195]                // 000000006E40: D3B140C2 18038504
	v_pk_mul_f32 v[152:153], v[4:5], v[152:153]                // 000000006E48: D3B14098 18033104
	v_pk_mul_f32 v[232:233], v[4:5], v[232:233]                // 000000006E50: D3B140E8 1803D104
	v_pk_mul_f32 v[154:155], v[4:5], v[154:155]                // 000000006E58: D3B1409A 18033504
	v_pk_mul_f32 v[234:235], v[4:5], v[234:235]                // 000000006E60: D3B140EA 1803D504
	v_mov_b32_e32 v4, v46                                      // 000000006E68: 7E08032E
	v_mov_b32_e32 v5, v4                                       // 000000006E6C: 7E0A0304
	v_pk_mul_f32 v[116:117], v[4:5], v[116:117]                // 000000006E70: D3B14074 1802E904
	v_pk_mul_f32 v[196:197], v[4:5], v[196:197]                // 000000006E78: D3B140C4 18038904
	v_pk_mul_f32 v[118:119], v[4:5], v[118:119]                // 000000006E80: D3B14076 1802ED04
	v_pk_mul_f32 v[198:199], v[4:5], v[198:199]                // 000000006E88: D3B140C6 18038D04
	v_pk_mul_f32 v[156:157], v[4:5], v[156:157]                // 000000006E90: D3B1409C 18033904
	v_pk_mul_f32 v[236:237], v[4:5], v[236:237]                // 000000006E98: D3B140EC 1803D904
	v_pk_mul_f32 v[158:159], v[4:5], v[158:159]                // 000000006EA0: D3B1409E 18033D04
	v_pk_mul_f32 v[238:239], v[4:5], v[238:239]                // 000000006EA8: D3B140EE 1803DD04
	v_mov_b32_e32 v4, v47                                      // 000000006EB0: 7E08032F
	v_mov_b32_e32 v5, v4                                       // 000000006EB4: 7E0A0304
	v_pk_mul_f32 v[120:121], v[4:5], v[120:121]                // 000000006EB8: D3B14078 1802F104
	v_pk_mul_f32 v[200:201], v[4:5], v[200:201]                // 000000006EC0: D3B140C8 18039104
	v_pk_mul_f32 v[122:123], v[4:5], v[122:123]                // 000000006EC8: D3B1407A 1802F504
	v_pk_mul_f32 v[202:203], v[4:5], v[202:203]                // 000000006ED0: D3B140CA 18039504
	v_pk_mul_f32 v[160:161], v[4:5], v[160:161]                // 000000006ED8: D3B140A0 18034104
	v_pk_mul_f32 v[240:241], v[4:5], v[240:241]                // 000000006EE0: D3B140F0 1803E104
	v_pk_mul_f32 v[162:163], v[4:5], v[162:163]                // 000000006EE8: D3B140A2 18034504
	v_pk_mul_f32 v[242:243], v[4:5], v[242:243]                // 000000006EF0: D3B140F2 1803E504
	v_mov_b32_e32 v4, v48                                      // 000000006EF8: 7E080330
	v_mov_b32_e32 v5, v4                                       // 000000006EFC: 7E0A0304
	v_pk_mul_f32 v[124:125], v[4:5], v[124:125]                // 000000006F00: D3B1407C 1802F904
	v_pk_mul_f32 v[204:205], v[4:5], v[204:205]                // 000000006F08: D3B140CC 18039904
	v_pk_mul_f32 v[126:127], v[4:5], v[126:127]                // 000000006F10: D3B1407E 1802FD04
	v_pk_mul_f32 v[206:207], v[4:5], v[206:207]                // 000000006F18: D3B140CE 18039D04
	v_pk_mul_f32 v[164:165], v[4:5], v[164:165]                // 000000006F20: D3B140A4 18034904
	v_pk_mul_f32 v[244:245], v[4:5], v[244:245]                // 000000006F28: D3B140F4 1803E904
	v_pk_mul_f32 v[166:167], v[4:5], v[166:167]                // 000000006F30: D3B140A6 18034D04
	v_pk_mul_f32 v[246:247], v[4:5], v[246:247]                // 000000006F38: D3B140F6 1803ED04
	v_mov_b32_e32 v4, v49                                      // 000000006F40: 7E080331
	v_mov_b32_e32 v5, v4                                       // 000000006F44: 7E0A0304
	v_pk_mul_f32 v[128:129], v[4:5], v[128:129]                // 000000006F48: D3B14080 18030104
	v_pk_mul_f32 v[208:209], v[4:5], v[208:209]                // 000000006F50: D3B140D0 1803A104
	v_pk_mul_f32 v[130:131], v[4:5], v[130:131]                // 000000006F58: D3B14082 18030504
	v_pk_mul_f32 v[210:211], v[4:5], v[210:211]                // 000000006F60: D3B140D2 1803A504
	v_pk_mul_f32 v[168:169], v[4:5], v[168:169]                // 000000006F68: D3B140A8 18035104
	v_pk_mul_f32 v[248:249], v[4:5], v[248:249]                // 000000006F70: D3B140F8 1803F104
	v_pk_mul_f32 v[170:171], v[4:5], v[170:171]                // 000000006F78: D3B140AA 18035504
	v_pk_mul_f32 v[250:251], v[4:5], v[250:251]                // 000000006F80: D3B140FA 1803F504
	s_cmp_eq_u32 s88, 0                                        // 000000006F88: BF068058
	s_cbranch_scc0 label_1D15                                  // 000000006F8C: BF840BB1
	s_cmp_eq_u32 s89, 0                                        // 000000006F90: BF068059
	s_cbranch_scc1 label_148B                                  // 000000006F94: BF850325
	v_mov_b32_e32 v8, v1                                       // 000000006F98: 7E100301
	v_mov_b32_e32 v9, v1                                       // 000000006F9C: 7E120301
	s_mov_b32 s60, s6                                          // 000000006FA0: BEBC0006
	s_mov_b32 s61, s6                                          // 000000006FA4: BEBD0006
	v_pk_mul_f32 v[4:5], v[92:93], v[92:93]                    // 000000006FA8: D3B14004 1802B95C
	v_pk_mul_f32 v[6:7], v[94:95], v[94:95]                    // 000000006FB0: D3B14006 1802BD5E
	v_pk_fma_f32 v[4:5], v[4:5], s[78:79], v[8:9]              // 000000006FB8: D3B04004 1C209D04
	v_pk_fma_f32 v[6:7], v[6:7], s[78:79], v[8:9]              // 000000006FC0: D3B04006 1C209D06
	v_pk_mul_f32 v[4:5], v[4:5], v[92:93]                      // 000000006FC8: D3B14004 1802B904
	v_pk_mul_f32 v[6:7], v[6:7], v[94:95]                      // 000000006FD0: D3B14006 1802BD06
	v_pk_mul_f32 v[4:5], v[4:5], s[60:61]                      // 000000006FD8: D3B14004 18007904
	v_pk_mul_f32 v[6:7], v[6:7], s[60:61]                      // 000000006FE0: D3B14006 18007906
	v_exp_f32_e32 v4, v4                                       // 000000006FE8: 7E084104
	v_exp_f32_e32 v5, v5                                       // 000000006FEC: 7E0A4105
	v_exp_f32_e32 v6, v6                                       // 000000006FF0: 7E0C4106
	v_exp_f32_e32 v7, v7                                       // 000000006FF4: 7E0E4107
	v_add_f32_e64 v4, v4, 1.0                                  // 000000006FF8: D1010004 0001E504
	v_add_f32_e64 v5, v5, 1.0                                  // 000000007000: D1010005 0001E505
	v_add_f32_e64 v6, v6, 1.0                                  // 000000007008: D1010006 0001E506
	v_add_f32_e64 v7, v7, 1.0                                  // 000000007010: D1010007 0001E507
	v_rcp_f32_e32 v4, v4                                       // 000000007018: 7E084504
	v_rcp_f32_e32 v5, v5                                       // 00000000701C: 7E0A4505
	v_rcp_f32_e32 v6, v6                                       // 000000007020: 7E0C4506
	v_rcp_f32_e32 v7, v7                                       // 000000007024: 7E0E4507
	v_mul_f32_e32 v92, v92, v4                                 // 000000007028: 0AB8095C
	v_mul_f32_e32 v93, v93, v5                                 // 00000000702C: 0ABA0B5D
	v_mul_f32_e32 v94, v94, v6                                 // 000000007030: 0ABC0D5E
	v_mul_f32_e32 v95, v95, v7                                 // 000000007034: 0ABE0F5F
	v_mul_f32_e32 v92, v92, v172                               // 000000007038: 0AB9595C
	v_mul_f32_e32 v93, v93, v173                               // 00000000703C: 0ABB5B5D
	v_mul_f32_e32 v94, v94, v174                               // 000000007040: 0ABD5D5E
	v_mul_f32_e32 v95, v95, v175                               // 000000007044: 0ABF5F5F
	v_pk_mul_f32 v[4:5], v[96:97], v[96:97]                    // 000000007048: D3B14004 1802C160
	v_pk_mul_f32 v[6:7], v[98:99], v[98:99]                    // 000000007050: D3B14006 1802C562
	v_pk_fma_f32 v[4:5], v[4:5], s[78:79], v[8:9]              // 000000007058: D3B04004 1C209D04
	v_pk_fma_f32 v[6:7], v[6:7], s[78:79], v[8:9]              // 000000007060: D3B04006 1C209D06
	v_pk_mul_f32 v[4:5], v[4:5], v[96:97]                      // 000000007068: D3B14004 1802C104
	v_pk_mul_f32 v[6:7], v[6:7], v[98:99]                      // 000000007070: D3B14006 1802C506
	v_pk_mul_f32 v[4:5], v[4:5], s[60:61]                      // 000000007078: D3B14004 18007904
	v_pk_mul_f32 v[6:7], v[6:7], s[60:61]                      // 000000007080: D3B14006 18007906
	v_exp_f32_e32 v4, v4                                       // 000000007088: 7E084104
	v_exp_f32_e32 v5, v5                                       // 00000000708C: 7E0A4105
	v_exp_f32_e32 v6, v6                                       // 000000007090: 7E0C4106
	v_exp_f32_e32 v7, v7                                       // 000000007094: 7E0E4107
	v_add_f32_e64 v4, v4, 1.0                                  // 000000007098: D1010004 0001E504
	v_add_f32_e64 v5, v5, 1.0                                  // 0000000070A0: D1010005 0001E505
	v_add_f32_e64 v6, v6, 1.0                                  // 0000000070A8: D1010006 0001E506
	v_add_f32_e64 v7, v7, 1.0                                  // 0000000070B0: D1010007 0001E507
	v_rcp_f32_e32 v4, v4                                       // 0000000070B8: 7E084504
	v_rcp_f32_e32 v5, v5                                       // 0000000070BC: 7E0A4505
	v_rcp_f32_e32 v6, v6                                       // 0000000070C0: 7E0C4506
	v_rcp_f32_e32 v7, v7                                       // 0000000070C4: 7E0E4507
	v_mul_f32_e32 v96, v96, v4                                 // 0000000070C8: 0AC00960
	v_mul_f32_e32 v97, v97, v5                                 // 0000000070CC: 0AC20B61
	v_mul_f32_e32 v98, v98, v6                                 // 0000000070D0: 0AC40D62
	v_mul_f32_e32 v99, v99, v7                                 // 0000000070D4: 0AC60F63
	v_mul_f32_e32 v96, v96, v176                               // 0000000070D8: 0AC16160
	v_mul_f32_e32 v97, v97, v177                               // 0000000070DC: 0AC36361
	v_mul_f32_e32 v98, v98, v178                               // 0000000070E0: 0AC56562
	v_mul_f32_e32 v99, v99, v179                               // 0000000070E4: 0AC76763
	v_pk_mul_f32 v[4:5], v[100:101], v[100:101]                // 0000000070E8: D3B14004 1802C964
	v_pk_mul_f32 v[6:7], v[102:103], v[102:103]                // 0000000070F0: D3B14006 1802CD66
	v_pk_fma_f32 v[4:5], v[4:5], s[78:79], v[8:9]              // 0000000070F8: D3B04004 1C209D04
	v_pk_fma_f32 v[6:7], v[6:7], s[78:79], v[8:9]              // 000000007100: D3B04006 1C209D06
	v_pk_mul_f32 v[4:5], v[4:5], v[100:101]                    // 000000007108: D3B14004 1802C904
	v_pk_mul_f32 v[6:7], v[6:7], v[102:103]                    // 000000007110: D3B14006 1802CD06
	v_pk_mul_f32 v[4:5], v[4:5], s[60:61]                      // 000000007118: D3B14004 18007904
	v_pk_mul_f32 v[6:7], v[6:7], s[60:61]                      // 000000007120: D3B14006 18007906
	v_exp_f32_e32 v4, v4                                       // 000000007128: 7E084104
	v_exp_f32_e32 v5, v5                                       // 00000000712C: 7E0A4105
	v_exp_f32_e32 v6, v6                                       // 000000007130: 7E0C4106
	v_exp_f32_e32 v7, v7                                       // 000000007134: 7E0E4107
	v_add_f32_e64 v4, v4, 1.0                                  // 000000007138: D1010004 0001E504
	v_add_f32_e64 v5, v5, 1.0                                  // 000000007140: D1010005 0001E505
	v_add_f32_e64 v6, v6, 1.0                                  // 000000007148: D1010006 0001E506
	v_add_f32_e64 v7, v7, 1.0                                  // 000000007150: D1010007 0001E507
	v_rcp_f32_e32 v4, v4                                       // 000000007158: 7E084504
	v_rcp_f32_e32 v5, v5                                       // 00000000715C: 7E0A4505
	v_rcp_f32_e32 v6, v6                                       // 000000007160: 7E0C4506
	v_rcp_f32_e32 v7, v7                                       // 000000007164: 7E0E4507
	v_mul_f32_e32 v100, v100, v4                               // 000000007168: 0AC80964
	v_mul_f32_e32 v101, v101, v5                               // 00000000716C: 0ACA0B65
	v_mul_f32_e32 v102, v102, v6                               // 000000007170: 0ACC0D66
	v_mul_f32_e32 v103, v103, v7                               // 000000007174: 0ACE0F67
	v_mul_f32_e32 v100, v100, v180                             // 000000007178: 0AC96964
	v_mul_f32_e32 v101, v101, v181                             // 00000000717C: 0ACB6B65
	v_mul_f32_e32 v102, v102, v182                             // 000000007180: 0ACD6D66
	v_mul_f32_e32 v103, v103, v183                             // 000000007184: 0ACF6F67
	v_pk_mul_f32 v[4:5], v[104:105], v[104:105]                // 000000007188: D3B14004 1802D168
	v_pk_mul_f32 v[6:7], v[106:107], v[106:107]                // 000000007190: D3B14006 1802D56A
	v_pk_fma_f32 v[4:5], v[4:5], s[78:79], v[8:9]              // 000000007198: D3B04004 1C209D04
	v_pk_fma_f32 v[6:7], v[6:7], s[78:79], v[8:9]              // 0000000071A0: D3B04006 1C209D06
	v_pk_mul_f32 v[4:5], v[4:5], v[104:105]                    // 0000000071A8: D3B14004 1802D104
	v_pk_mul_f32 v[6:7], v[6:7], v[106:107]                    // 0000000071B0: D3B14006 1802D506
	v_pk_mul_f32 v[4:5], v[4:5], s[60:61]                      // 0000000071B8: D3B14004 18007904
	v_pk_mul_f32 v[6:7], v[6:7], s[60:61]                      // 0000000071C0: D3B14006 18007906
	v_exp_f32_e32 v4, v4                                       // 0000000071C8: 7E084104
	v_exp_f32_e32 v5, v5                                       // 0000000071CC: 7E0A4105
	v_exp_f32_e32 v6, v6                                       // 0000000071D0: 7E0C4106
	v_exp_f32_e32 v7, v7                                       // 0000000071D4: 7E0E4107
	v_add_f32_e64 v4, v4, 1.0                                  // 0000000071D8: D1010004 0001E504
	v_add_f32_e64 v5, v5, 1.0                                  // 0000000071E0: D1010005 0001E505
	v_add_f32_e64 v6, v6, 1.0                                  // 0000000071E8: D1010006 0001E506
	v_add_f32_e64 v7, v7, 1.0                                  // 0000000071F0: D1010007 0001E507
	v_rcp_f32_e32 v4, v4                                       // 0000000071F8: 7E084504
	v_rcp_f32_e32 v5, v5                                       // 0000000071FC: 7E0A4505
	v_rcp_f32_e32 v6, v6                                       // 000000007200: 7E0C4506
	v_rcp_f32_e32 v7, v7                                       // 000000007204: 7E0E4507
	v_mul_f32_e32 v104, v104, v4                               // 000000007208: 0AD00968
	v_mul_f32_e32 v105, v105, v5                               // 00000000720C: 0AD20B69
	v_mul_f32_e32 v106, v106, v6                               // 000000007210: 0AD40D6A
	v_mul_f32_e32 v107, v107, v7                               // 000000007214: 0AD60F6B
	v_mul_f32_e32 v104, v104, v184                             // 000000007218: 0AD17168
	v_mul_f32_e32 v105, v105, v185                             // 00000000721C: 0AD37369
	v_mul_f32_e32 v106, v106, v186                             // 000000007220: 0AD5756A
	v_mul_f32_e32 v107, v107, v187                             // 000000007224: 0AD7776B
	v_pk_mul_f32 v[4:5], v[108:109], v[108:109]                // 000000007228: D3B14004 1802D96C
	v_pk_mul_f32 v[6:7], v[110:111], v[110:111]                // 000000007230: D3B14006 1802DD6E
	v_pk_fma_f32 v[4:5], v[4:5], s[78:79], v[8:9]              // 000000007238: D3B04004 1C209D04
	v_pk_fma_f32 v[6:7], v[6:7], s[78:79], v[8:9]              // 000000007240: D3B04006 1C209D06
	v_pk_mul_f32 v[4:5], v[4:5], v[108:109]                    // 000000007248: D3B14004 1802D904
	v_pk_mul_f32 v[6:7], v[6:7], v[110:111]                    // 000000007250: D3B14006 1802DD06
	v_pk_mul_f32 v[4:5], v[4:5], s[60:61]                      // 000000007258: D3B14004 18007904
	v_pk_mul_f32 v[6:7], v[6:7], s[60:61]                      // 000000007260: D3B14006 18007906
	v_exp_f32_e32 v4, v4                                       // 000000007268: 7E084104
	v_exp_f32_e32 v5, v5                                       // 00000000726C: 7E0A4105
	v_exp_f32_e32 v6, v6                                       // 000000007270: 7E0C4106
	v_exp_f32_e32 v7, v7                                       // 000000007274: 7E0E4107
	v_add_f32_e64 v4, v4, 1.0                                  // 000000007278: D1010004 0001E504
	v_add_f32_e64 v5, v5, 1.0                                  // 000000007280: D1010005 0001E505
	v_add_f32_e64 v6, v6, 1.0                                  // 000000007288: D1010006 0001E506
	v_add_f32_e64 v7, v7, 1.0                                  // 000000007290: D1010007 0001E507
	v_rcp_f32_e32 v4, v4                                       // 000000007298: 7E084504
	v_rcp_f32_e32 v5, v5                                       // 00000000729C: 7E0A4505
	v_rcp_f32_e32 v6, v6                                       // 0000000072A0: 7E0C4506
	v_rcp_f32_e32 v7, v7                                       // 0000000072A4: 7E0E4507
	v_mul_f32_e32 v108, v108, v4                               // 0000000072A8: 0AD8096C
	v_mul_f32_e32 v109, v109, v5                               // 0000000072AC: 0ADA0B6D
	v_mul_f32_e32 v110, v110, v6                               // 0000000072B0: 0ADC0D6E
	v_mul_f32_e32 v111, v111, v7                               // 0000000072B4: 0ADE0F6F
	v_mul_f32_e32 v108, v108, v188                             // 0000000072B8: 0AD9796C
	v_mul_f32_e32 v109, v109, v189                             // 0000000072BC: 0ADB7B6D
	v_mul_f32_e32 v110, v110, v190                             // 0000000072C0: 0ADD7D6E
	v_mul_f32_e32 v111, v111, v191                             // 0000000072C4: 0ADF7F6F
	v_pk_mul_f32 v[4:5], v[112:113], v[112:113]                // 0000000072C8: D3B14004 1802E170
	v_pk_mul_f32 v[6:7], v[114:115], v[114:115]                // 0000000072D0: D3B14006 1802E572
	v_pk_fma_f32 v[4:5], v[4:5], s[78:79], v[8:9]              // 0000000072D8: D3B04004 1C209D04
	v_pk_fma_f32 v[6:7], v[6:7], s[78:79], v[8:9]              // 0000000072E0: D3B04006 1C209D06
	v_pk_mul_f32 v[4:5], v[4:5], v[112:113]                    // 0000000072E8: D3B14004 1802E104
	v_pk_mul_f32 v[6:7], v[6:7], v[114:115]                    // 0000000072F0: D3B14006 1802E506
	v_pk_mul_f32 v[4:5], v[4:5], s[60:61]                      // 0000000072F8: D3B14004 18007904
	v_pk_mul_f32 v[6:7], v[6:7], s[60:61]                      // 000000007300: D3B14006 18007906
	v_exp_f32_e32 v4, v4                                       // 000000007308: 7E084104
	v_exp_f32_e32 v5, v5                                       // 00000000730C: 7E0A4105
	v_exp_f32_e32 v6, v6                                       // 000000007310: 7E0C4106
	v_exp_f32_e32 v7, v7                                       // 000000007314: 7E0E4107
	v_add_f32_e64 v4, v4, 1.0                                  // 000000007318: D1010004 0001E504
	v_add_f32_e64 v5, v5, 1.0                                  // 000000007320: D1010005 0001E505
	v_add_f32_e64 v6, v6, 1.0                                  // 000000007328: D1010006 0001E506
	v_add_f32_e64 v7, v7, 1.0                                  // 000000007330: D1010007 0001E507
	v_rcp_f32_e32 v4, v4                                       // 000000007338: 7E084504
	v_rcp_f32_e32 v5, v5                                       // 00000000733C: 7E0A4505
	v_rcp_f32_e32 v6, v6                                       // 000000007340: 7E0C4506
	v_rcp_f32_e32 v7, v7                                       // 000000007344: 7E0E4507
	v_mul_f32_e32 v112, v112, v4                               // 000000007348: 0AE00970
	v_mul_f32_e32 v113, v113, v5                               // 00000000734C: 0AE20B71
	v_mul_f32_e32 v114, v114, v6                               // 000000007350: 0AE40D72
	v_mul_f32_e32 v115, v115, v7                               // 000000007354: 0AE60F73
	v_mul_f32_e32 v112, v112, v192                             // 000000007358: 0AE18170
	v_mul_f32_e32 v113, v113, v193                             // 00000000735C: 0AE38371
	v_mul_f32_e32 v114, v114, v194                             // 000000007360: 0AE58572
	v_mul_f32_e32 v115, v115, v195                             // 000000007364: 0AE78773
	v_pk_mul_f32 v[4:5], v[116:117], v[116:117]                // 000000007368: D3B14004 1802E974
	v_pk_mul_f32 v[6:7], v[118:119], v[118:119]                // 000000007370: D3B14006 1802ED76
	v_pk_fma_f32 v[4:5], v[4:5], s[78:79], v[8:9]              // 000000007378: D3B04004 1C209D04
	v_pk_fma_f32 v[6:7], v[6:7], s[78:79], v[8:9]              // 000000007380: D3B04006 1C209D06
	v_pk_mul_f32 v[4:5], v[4:5], v[116:117]                    // 000000007388: D3B14004 1802E904
	v_pk_mul_f32 v[6:7], v[6:7], v[118:119]                    // 000000007390: D3B14006 1802ED06
	v_pk_mul_f32 v[4:5], v[4:5], s[60:61]                      // 000000007398: D3B14004 18007904
	v_pk_mul_f32 v[6:7], v[6:7], s[60:61]                      // 0000000073A0: D3B14006 18007906
	v_exp_f32_e32 v4, v4                                       // 0000000073A8: 7E084104
	v_exp_f32_e32 v5, v5                                       // 0000000073AC: 7E0A4105
	v_exp_f32_e32 v6, v6                                       // 0000000073B0: 7E0C4106
	v_exp_f32_e32 v7, v7                                       // 0000000073B4: 7E0E4107
	v_add_f32_e64 v4, v4, 1.0                                  // 0000000073B8: D1010004 0001E504
	v_add_f32_e64 v5, v5, 1.0                                  // 0000000073C0: D1010005 0001E505
	v_add_f32_e64 v6, v6, 1.0                                  // 0000000073C8: D1010006 0001E506
	v_add_f32_e64 v7, v7, 1.0                                  // 0000000073D0: D1010007 0001E507
	v_rcp_f32_e32 v4, v4                                       // 0000000073D8: 7E084504
	v_rcp_f32_e32 v5, v5                                       // 0000000073DC: 7E0A4505
	v_rcp_f32_e32 v6, v6                                       // 0000000073E0: 7E0C4506
	v_rcp_f32_e32 v7, v7                                       // 0000000073E4: 7E0E4507
	v_mul_f32_e32 v116, v116, v4                               // 0000000073E8: 0AE80974
	v_mul_f32_e32 v117, v117, v5                               // 0000000073EC: 0AEA0B75
	v_mul_f32_e32 v118, v118, v6                               // 0000000073F0: 0AEC0D76
	v_mul_f32_e32 v119, v119, v7                               // 0000000073F4: 0AEE0F77
	v_mul_f32_e32 v116, v116, v196                             // 0000000073F8: 0AE98974
	v_mul_f32_e32 v117, v117, v197                             // 0000000073FC: 0AEB8B75
	v_mul_f32_e32 v118, v118, v198                             // 000000007400: 0AED8D76
	v_mul_f32_e32 v119, v119, v199                             // 000000007404: 0AEF8F77
	v_pk_mul_f32 v[4:5], v[120:121], v[120:121]                // 000000007408: D3B14004 1802F178
	v_pk_mul_f32 v[6:7], v[122:123], v[122:123]                // 000000007410: D3B14006 1802F57A
	v_pk_fma_f32 v[4:5], v[4:5], s[78:79], v[8:9]              // 000000007418: D3B04004 1C209D04
	v_pk_fma_f32 v[6:7], v[6:7], s[78:79], v[8:9]              // 000000007420: D3B04006 1C209D06
	v_pk_mul_f32 v[4:5], v[4:5], v[120:121]                    // 000000007428: D3B14004 1802F104
	v_pk_mul_f32 v[6:7], v[6:7], v[122:123]                    // 000000007430: D3B14006 1802F506
	v_pk_mul_f32 v[4:5], v[4:5], s[60:61]                      // 000000007438: D3B14004 18007904
	v_pk_mul_f32 v[6:7], v[6:7], s[60:61]                      // 000000007440: D3B14006 18007906
	v_exp_f32_e32 v4, v4                                       // 000000007448: 7E084104
	v_exp_f32_e32 v5, v5                                       // 00000000744C: 7E0A4105
	v_exp_f32_e32 v6, v6                                       // 000000007450: 7E0C4106
	v_exp_f32_e32 v7, v7                                       // 000000007454: 7E0E4107
	v_add_f32_e64 v4, v4, 1.0                                  // 000000007458: D1010004 0001E504
	v_add_f32_e64 v5, v5, 1.0                                  // 000000007460: D1010005 0001E505
	v_add_f32_e64 v6, v6, 1.0                                  // 000000007468: D1010006 0001E506
	v_add_f32_e64 v7, v7, 1.0                                  // 000000007470: D1010007 0001E507
	v_rcp_f32_e32 v4, v4                                       // 000000007478: 7E084504
	v_rcp_f32_e32 v5, v5                                       // 00000000747C: 7E0A4505
	v_rcp_f32_e32 v6, v6                                       // 000000007480: 7E0C4506
	v_rcp_f32_e32 v7, v7                                       // 000000007484: 7E0E4507
	v_mul_f32_e32 v120, v120, v4                               // 000000007488: 0AF00978
	v_mul_f32_e32 v121, v121, v5                               // 00000000748C: 0AF20B79
	v_mul_f32_e32 v122, v122, v6                               // 000000007490: 0AF40D7A
	v_mul_f32_e32 v123, v123, v7                               // 000000007494: 0AF60F7B
	v_mul_f32_e32 v120, v120, v200                             // 000000007498: 0AF19178
	v_mul_f32_e32 v121, v121, v201                             // 00000000749C: 0AF39379
	v_mul_f32_e32 v122, v122, v202                             // 0000000074A0: 0AF5957A
	v_mul_f32_e32 v123, v123, v203                             // 0000000074A4: 0AF7977B
	v_pk_mul_f32 v[4:5], v[124:125], v[124:125]                // 0000000074A8: D3B14004 1802F97C
	v_pk_mul_f32 v[6:7], v[126:127], v[126:127]                // 0000000074B0: D3B14006 1802FD7E
	v_pk_fma_f32 v[4:5], v[4:5], s[78:79], v[8:9]              // 0000000074B8: D3B04004 1C209D04
	v_pk_fma_f32 v[6:7], v[6:7], s[78:79], v[8:9]              // 0000000074C0: D3B04006 1C209D06
	v_pk_mul_f32 v[4:5], v[4:5], v[124:125]                    // 0000000074C8: D3B14004 1802F904
	v_pk_mul_f32 v[6:7], v[6:7], v[126:127]                    // 0000000074D0: D3B14006 1802FD06
	v_pk_mul_f32 v[4:5], v[4:5], s[60:61]                      // 0000000074D8: D3B14004 18007904
	v_pk_mul_f32 v[6:7], v[6:7], s[60:61]                      // 0000000074E0: D3B14006 18007906
	v_exp_f32_e32 v4, v4                                       // 0000000074E8: 7E084104
	v_exp_f32_e32 v5, v5                                       // 0000000074EC: 7E0A4105
	v_exp_f32_e32 v6, v6                                       // 0000000074F0: 7E0C4106
	v_exp_f32_e32 v7, v7                                       // 0000000074F4: 7E0E4107
	v_add_f32_e64 v4, v4, 1.0                                  // 0000000074F8: D1010004 0001E504
	v_add_f32_e64 v5, v5, 1.0                                  // 000000007500: D1010005 0001E505
	v_add_f32_e64 v6, v6, 1.0                                  // 000000007508: D1010006 0001E506
	v_add_f32_e64 v7, v7, 1.0                                  // 000000007510: D1010007 0001E507
	v_rcp_f32_e32 v4, v4                                       // 000000007518: 7E084504
	v_rcp_f32_e32 v5, v5                                       // 00000000751C: 7E0A4505
	v_rcp_f32_e32 v6, v6                                       // 000000007520: 7E0C4506
	v_rcp_f32_e32 v7, v7                                       // 000000007524: 7E0E4507
	v_mul_f32_e32 v124, v124, v4                               // 000000007528: 0AF8097C
	v_mul_f32_e32 v125, v125, v5                               // 00000000752C: 0AFA0B7D
	v_mul_f32_e32 v126, v126, v6                               // 000000007530: 0AFC0D7E
	v_mul_f32_e32 v127, v127, v7                               // 000000007534: 0AFE0F7F
	v_mul_f32_e32 v124, v124, v204                             // 000000007538: 0AF9997C
	v_mul_f32_e32 v125, v125, v205                             // 00000000753C: 0AFB9B7D
	v_mul_f32_e32 v126, v126, v206                             // 000000007540: 0AFD9D7E
	v_mul_f32_e32 v127, v127, v207                             // 000000007544: 0AFF9F7F
	v_pk_mul_f32 v[4:5], v[128:129], v[128:129]                // 000000007548: D3B14004 18030180
	v_pk_mul_f32 v[6:7], v[130:131], v[130:131]                // 000000007550: D3B14006 18030582
	v_pk_fma_f32 v[4:5], v[4:5], s[78:79], v[8:9]              // 000000007558: D3B04004 1C209D04
	v_pk_fma_f32 v[6:7], v[6:7], s[78:79], v[8:9]              // 000000007560: D3B04006 1C209D06
	v_pk_mul_f32 v[4:5], v[4:5], v[128:129]                    // 000000007568: D3B14004 18030104
	v_pk_mul_f32 v[6:7], v[6:7], v[130:131]                    // 000000007570: D3B14006 18030506
	v_pk_mul_f32 v[4:5], v[4:5], s[60:61]                      // 000000007578: D3B14004 18007904
	v_pk_mul_f32 v[6:7], v[6:7], s[60:61]                      // 000000007580: D3B14006 18007906
	v_exp_f32_e32 v4, v4                                       // 000000007588: 7E084104
	v_exp_f32_e32 v5, v5                                       // 00000000758C: 7E0A4105
	v_exp_f32_e32 v6, v6                                       // 000000007590: 7E0C4106
	v_exp_f32_e32 v7, v7                                       // 000000007594: 7E0E4107
	v_add_f32_e64 v4, v4, 1.0                                  // 000000007598: D1010004 0001E504
	v_add_f32_e64 v5, v5, 1.0                                  // 0000000075A0: D1010005 0001E505
	v_add_f32_e64 v6, v6, 1.0                                  // 0000000075A8: D1010006 0001E506
	v_add_f32_e64 v7, v7, 1.0                                  // 0000000075B0: D1010007 0001E507
	v_rcp_f32_e32 v4, v4                                       // 0000000075B8: 7E084504
	v_rcp_f32_e32 v5, v5                                       // 0000000075BC: 7E0A4505
	v_rcp_f32_e32 v6, v6                                       // 0000000075C0: 7E0C4506
	v_rcp_f32_e32 v7, v7                                       // 0000000075C4: 7E0E4507
	v_mul_f32_e32 v128, v128, v4                               // 0000000075C8: 0B000980
	v_mul_f32_e32 v129, v129, v5                               // 0000000075CC: 0B020B81
	v_mul_f32_e32 v130, v130, v6                               // 0000000075D0: 0B040D82
	v_mul_f32_e32 v131, v131, v7                               // 0000000075D4: 0B060F83
	v_mul_f32_e32 v128, v128, v208                             // 0000000075D8: 0B01A180
	v_mul_f32_e32 v129, v129, v209                             // 0000000075DC: 0B03A381
	v_mul_f32_e32 v130, v130, v210                             // 0000000075E0: 0B05A582
	v_mul_f32_e32 v131, v131, v211                             // 0000000075E4: 0B07A783
	v_pk_mul_f32 v[4:5], v[132:133], v[132:133]                // 0000000075E8: D3B14004 18030984
	v_pk_mul_f32 v[6:7], v[134:135], v[134:135]                // 0000000075F0: D3B14006 18030D86
	v_pk_fma_f32 v[4:5], v[4:5], s[78:79], v[8:9]              // 0000000075F8: D3B04004 1C209D04
	v_pk_fma_f32 v[6:7], v[6:7], s[78:79], v[8:9]              // 000000007600: D3B04006 1C209D06
	v_pk_mul_f32 v[4:5], v[4:5], v[132:133]                    // 000000007608: D3B14004 18030904
	v_pk_mul_f32 v[6:7], v[6:7], v[134:135]                    // 000000007610: D3B14006 18030D06
	v_pk_mul_f32 v[4:5], v[4:5], s[60:61]                      // 000000007618: D3B14004 18007904
	v_pk_mul_f32 v[6:7], v[6:7], s[60:61]                      // 000000007620: D3B14006 18007906
	v_exp_f32_e32 v4, v4                                       // 000000007628: 7E084104
	v_exp_f32_e32 v5, v5                                       // 00000000762C: 7E0A4105
	v_exp_f32_e32 v6, v6                                       // 000000007630: 7E0C4106
	v_exp_f32_e32 v7, v7                                       // 000000007634: 7E0E4107
	v_add_f32_e64 v4, v4, 1.0                                  // 000000007638: D1010004 0001E504
	v_add_f32_e64 v5, v5, 1.0                                  // 000000007640: D1010005 0001E505
	v_add_f32_e64 v6, v6, 1.0                                  // 000000007648: D1010006 0001E506
	v_add_f32_e64 v7, v7, 1.0                                  // 000000007650: D1010007 0001E507
	v_rcp_f32_e32 v4, v4                                       // 000000007658: 7E084504
	v_rcp_f32_e32 v5, v5                                       // 00000000765C: 7E0A4505
	v_rcp_f32_e32 v6, v6                                       // 000000007660: 7E0C4506
	v_rcp_f32_e32 v7, v7                                       // 000000007664: 7E0E4507
	v_mul_f32_e32 v132, v132, v4                               // 000000007668: 0B080984
	v_mul_f32_e32 v133, v133, v5                               // 00000000766C: 0B0A0B85
	v_mul_f32_e32 v134, v134, v6                               // 000000007670: 0B0C0D86
	v_mul_f32_e32 v135, v135, v7                               // 000000007674: 0B0E0F87
	v_mul_f32_e32 v132, v132, v212                             // 000000007678: 0B09A984
	v_mul_f32_e32 v133, v133, v213                             // 00000000767C: 0B0BAB85
	v_mul_f32_e32 v134, v134, v214                             // 000000007680: 0B0DAD86
	v_mul_f32_e32 v135, v135, v215                             // 000000007684: 0B0FAF87
	v_pk_mul_f32 v[4:5], v[136:137], v[136:137]                // 000000007688: D3B14004 18031188
	v_pk_mul_f32 v[6:7], v[138:139], v[138:139]                // 000000007690: D3B14006 1803158A
	v_pk_fma_f32 v[4:5], v[4:5], s[78:79], v[8:9]              // 000000007698: D3B04004 1C209D04
	v_pk_fma_f32 v[6:7], v[6:7], s[78:79], v[8:9]              // 0000000076A0: D3B04006 1C209D06
	v_pk_mul_f32 v[4:5], v[4:5], v[136:137]                    // 0000000076A8: D3B14004 18031104
	v_pk_mul_f32 v[6:7], v[6:7], v[138:139]                    // 0000000076B0: D3B14006 18031506
	v_pk_mul_f32 v[4:5], v[4:5], s[60:61]                      // 0000000076B8: D3B14004 18007904
	v_pk_mul_f32 v[6:7], v[6:7], s[60:61]                      // 0000000076C0: D3B14006 18007906
	v_exp_f32_e32 v4, v4                                       // 0000000076C8: 7E084104
	v_exp_f32_e32 v5, v5                                       // 0000000076CC: 7E0A4105
	v_exp_f32_e32 v6, v6                                       // 0000000076D0: 7E0C4106
	v_exp_f32_e32 v7, v7                                       // 0000000076D4: 7E0E4107
	v_add_f32_e64 v4, v4, 1.0                                  // 0000000076D8: D1010004 0001E504
	v_add_f32_e64 v5, v5, 1.0                                  // 0000000076E0: D1010005 0001E505
	v_add_f32_e64 v6, v6, 1.0                                  // 0000000076E8: D1010006 0001E506
	v_add_f32_e64 v7, v7, 1.0                                  // 0000000076F0: D1010007 0001E507
	v_rcp_f32_e32 v4, v4                                       // 0000000076F8: 7E084504
	v_rcp_f32_e32 v5, v5                                       // 0000000076FC: 7E0A4505
	v_rcp_f32_e32 v6, v6                                       // 000000007700: 7E0C4506
	v_rcp_f32_e32 v7, v7                                       // 000000007704: 7E0E4507
	v_mul_f32_e32 v136, v136, v4                               // 000000007708: 0B100988
	v_mul_f32_e32 v137, v137, v5                               // 00000000770C: 0B120B89
	v_mul_f32_e32 v138, v138, v6                               // 000000007710: 0B140D8A
	v_mul_f32_e32 v139, v139, v7                               // 000000007714: 0B160F8B
	v_mul_f32_e32 v136, v136, v216                             // 000000007718: 0B11B188
	v_mul_f32_e32 v137, v137, v217                             // 00000000771C: 0B13B389
	v_mul_f32_e32 v138, v138, v218                             // 000000007720: 0B15B58A
	v_mul_f32_e32 v139, v139, v219                             // 000000007724: 0B17B78B
	v_pk_mul_f32 v[4:5], v[140:141], v[140:141]                // 000000007728: D3B14004 1803198C
	v_pk_mul_f32 v[6:7], v[142:143], v[142:143]                // 000000007730: D3B14006 18031D8E
	v_pk_fma_f32 v[4:5], v[4:5], s[78:79], v[8:9]              // 000000007738: D3B04004 1C209D04
	v_pk_fma_f32 v[6:7], v[6:7], s[78:79], v[8:9]              // 000000007740: D3B04006 1C209D06
	v_pk_mul_f32 v[4:5], v[4:5], v[140:141]                    // 000000007748: D3B14004 18031904
	v_pk_mul_f32 v[6:7], v[6:7], v[142:143]                    // 000000007750: D3B14006 18031D06
	v_pk_mul_f32 v[4:5], v[4:5], s[60:61]                      // 000000007758: D3B14004 18007904
	v_pk_mul_f32 v[6:7], v[6:7], s[60:61]                      // 000000007760: D3B14006 18007906
	v_exp_f32_e32 v4, v4                                       // 000000007768: 7E084104
	v_exp_f32_e32 v5, v5                                       // 00000000776C: 7E0A4105
	v_exp_f32_e32 v6, v6                                       // 000000007770: 7E0C4106
	v_exp_f32_e32 v7, v7                                       // 000000007774: 7E0E4107
	v_add_f32_e64 v4, v4, 1.0                                  // 000000007778: D1010004 0001E504
	v_add_f32_e64 v5, v5, 1.0                                  // 000000007780: D1010005 0001E505
	v_add_f32_e64 v6, v6, 1.0                                  // 000000007788: D1010006 0001E506
	v_add_f32_e64 v7, v7, 1.0                                  // 000000007790: D1010007 0001E507
	v_rcp_f32_e32 v4, v4                                       // 000000007798: 7E084504
	v_rcp_f32_e32 v5, v5                                       // 00000000779C: 7E0A4505
	v_rcp_f32_e32 v6, v6                                       // 0000000077A0: 7E0C4506
	v_rcp_f32_e32 v7, v7                                       // 0000000077A4: 7E0E4507
	v_mul_f32_e32 v140, v140, v4                               // 0000000077A8: 0B18098C
	v_mul_f32_e32 v141, v141, v5                               // 0000000077AC: 0B1A0B8D
	v_mul_f32_e32 v142, v142, v6                               // 0000000077B0: 0B1C0D8E
	v_mul_f32_e32 v143, v143, v7                               // 0000000077B4: 0B1E0F8F
	v_mul_f32_e32 v140, v140, v220                             // 0000000077B8: 0B19B98C
	v_mul_f32_e32 v141, v141, v221                             // 0000000077BC: 0B1BBB8D
	v_mul_f32_e32 v142, v142, v222                             // 0000000077C0: 0B1DBD8E
	v_mul_f32_e32 v143, v143, v223                             // 0000000077C4: 0B1FBF8F
	v_pk_mul_f32 v[4:5], v[144:145], v[144:145]                // 0000000077C8: D3B14004 18032190
	v_pk_mul_f32 v[6:7], v[146:147], v[146:147]                // 0000000077D0: D3B14006 18032592
	v_pk_fma_f32 v[4:5], v[4:5], s[78:79], v[8:9]              // 0000000077D8: D3B04004 1C209D04
	v_pk_fma_f32 v[6:7], v[6:7], s[78:79], v[8:9]              // 0000000077E0: D3B04006 1C209D06
	v_pk_mul_f32 v[4:5], v[4:5], v[144:145]                    // 0000000077E8: D3B14004 18032104
	v_pk_mul_f32 v[6:7], v[6:7], v[146:147]                    // 0000000077F0: D3B14006 18032506
	v_pk_mul_f32 v[4:5], v[4:5], s[60:61]                      // 0000000077F8: D3B14004 18007904
	v_pk_mul_f32 v[6:7], v[6:7], s[60:61]                      // 000000007800: D3B14006 18007906
	v_exp_f32_e32 v4, v4                                       // 000000007808: 7E084104
	v_exp_f32_e32 v5, v5                                       // 00000000780C: 7E0A4105
	v_exp_f32_e32 v6, v6                                       // 000000007810: 7E0C4106
	v_exp_f32_e32 v7, v7                                       // 000000007814: 7E0E4107
	v_add_f32_e64 v4, v4, 1.0                                  // 000000007818: D1010004 0001E504
	v_add_f32_e64 v5, v5, 1.0                                  // 000000007820: D1010005 0001E505
	v_add_f32_e64 v6, v6, 1.0                                  // 000000007828: D1010006 0001E506
	v_add_f32_e64 v7, v7, 1.0                                  // 000000007830: D1010007 0001E507
	v_rcp_f32_e32 v4, v4                                       // 000000007838: 7E084504
	v_rcp_f32_e32 v5, v5                                       // 00000000783C: 7E0A4505
	v_rcp_f32_e32 v6, v6                                       // 000000007840: 7E0C4506
	v_rcp_f32_e32 v7, v7                                       // 000000007844: 7E0E4507
	v_mul_f32_e32 v144, v144, v4                               // 000000007848: 0B200990
	v_mul_f32_e32 v145, v145, v5                               // 00000000784C: 0B220B91
	v_mul_f32_e32 v146, v146, v6                               // 000000007850: 0B240D92
	v_mul_f32_e32 v147, v147, v7                               // 000000007854: 0B260F93
	v_mul_f32_e32 v144, v144, v224                             // 000000007858: 0B21C190
	v_mul_f32_e32 v145, v145, v225                             // 00000000785C: 0B23C391
	v_mul_f32_e32 v146, v146, v226                             // 000000007860: 0B25C592
	v_mul_f32_e32 v147, v147, v227                             // 000000007864: 0B27C793
	v_pk_mul_f32 v[4:5], v[148:149], v[148:149]                // 000000007868: D3B14004 18032994
	v_pk_mul_f32 v[6:7], v[150:151], v[150:151]                // 000000007870: D3B14006 18032D96
	v_pk_fma_f32 v[4:5], v[4:5], s[78:79], v[8:9]              // 000000007878: D3B04004 1C209D04
	v_pk_fma_f32 v[6:7], v[6:7], s[78:79], v[8:9]              // 000000007880: D3B04006 1C209D06
	v_pk_mul_f32 v[4:5], v[4:5], v[148:149]                    // 000000007888: D3B14004 18032904
	v_pk_mul_f32 v[6:7], v[6:7], v[150:151]                    // 000000007890: D3B14006 18032D06
	v_pk_mul_f32 v[4:5], v[4:5], s[60:61]                      // 000000007898: D3B14004 18007904
	v_pk_mul_f32 v[6:7], v[6:7], s[60:61]                      // 0000000078A0: D3B14006 18007906
	v_exp_f32_e32 v4, v4                                       // 0000000078A8: 7E084104
	v_exp_f32_e32 v5, v5                                       // 0000000078AC: 7E0A4105
	v_exp_f32_e32 v6, v6                                       // 0000000078B0: 7E0C4106
	v_exp_f32_e32 v7, v7                                       // 0000000078B4: 7E0E4107
	v_add_f32_e64 v4, v4, 1.0                                  // 0000000078B8: D1010004 0001E504
	v_add_f32_e64 v5, v5, 1.0                                  // 0000000078C0: D1010005 0001E505
	v_add_f32_e64 v6, v6, 1.0                                  // 0000000078C8: D1010006 0001E506
	v_add_f32_e64 v7, v7, 1.0                                  // 0000000078D0: D1010007 0001E507
	v_rcp_f32_e32 v4, v4                                       // 0000000078D8: 7E084504
	v_rcp_f32_e32 v5, v5                                       // 0000000078DC: 7E0A4505
	v_rcp_f32_e32 v6, v6                                       // 0000000078E0: 7E0C4506
	v_rcp_f32_e32 v7, v7                                       // 0000000078E4: 7E0E4507
	v_mul_f32_e32 v148, v148, v4                               // 0000000078E8: 0B280994
	v_mul_f32_e32 v149, v149, v5                               // 0000000078EC: 0B2A0B95
	v_mul_f32_e32 v150, v150, v6                               // 0000000078F0: 0B2C0D96
	v_mul_f32_e32 v151, v151, v7                               // 0000000078F4: 0B2E0F97
	v_mul_f32_e32 v148, v148, v228                             // 0000000078F8: 0B29C994
	v_mul_f32_e32 v149, v149, v229                             // 0000000078FC: 0B2BCB95
	v_mul_f32_e32 v150, v150, v230                             // 000000007900: 0B2DCD96
	v_mul_f32_e32 v151, v151, v231                             // 000000007904: 0B2FCF97
	v_pk_mul_f32 v[4:5], v[152:153], v[152:153]                // 000000007908: D3B14004 18033198
	v_pk_mul_f32 v[6:7], v[154:155], v[154:155]                // 000000007910: D3B14006 1803359A
	v_pk_fma_f32 v[4:5], v[4:5], s[78:79], v[8:9]              // 000000007918: D3B04004 1C209D04
	v_pk_fma_f32 v[6:7], v[6:7], s[78:79], v[8:9]              // 000000007920: D3B04006 1C209D06
	v_pk_mul_f32 v[4:5], v[4:5], v[152:153]                    // 000000007928: D3B14004 18033104
	v_pk_mul_f32 v[6:7], v[6:7], v[154:155]                    // 000000007930: D3B14006 18033506
	v_pk_mul_f32 v[4:5], v[4:5], s[60:61]                      // 000000007938: D3B14004 18007904
	v_pk_mul_f32 v[6:7], v[6:7], s[60:61]                      // 000000007940: D3B14006 18007906
	v_exp_f32_e32 v4, v4                                       // 000000007948: 7E084104
	v_exp_f32_e32 v5, v5                                       // 00000000794C: 7E0A4105
	v_exp_f32_e32 v6, v6                                       // 000000007950: 7E0C4106
	v_exp_f32_e32 v7, v7                                       // 000000007954: 7E0E4107
	v_add_f32_e64 v4, v4, 1.0                                  // 000000007958: D1010004 0001E504
	v_add_f32_e64 v5, v5, 1.0                                  // 000000007960: D1010005 0001E505
	v_add_f32_e64 v6, v6, 1.0                                  // 000000007968: D1010006 0001E506
	v_add_f32_e64 v7, v7, 1.0                                  // 000000007970: D1010007 0001E507
	v_rcp_f32_e32 v4, v4                                       // 000000007978: 7E084504
	v_rcp_f32_e32 v5, v5                                       // 00000000797C: 7E0A4505
	v_rcp_f32_e32 v6, v6                                       // 000000007980: 7E0C4506
	v_rcp_f32_e32 v7, v7                                       // 000000007984: 7E0E4507
	v_mul_f32_e32 v152, v152, v4                               // 000000007988: 0B300998
	v_mul_f32_e32 v153, v153, v5                               // 00000000798C: 0B320B99
	v_mul_f32_e32 v154, v154, v6                               // 000000007990: 0B340D9A
	v_mul_f32_e32 v155, v155, v7                               // 000000007994: 0B360F9B
	v_mul_f32_e32 v152, v152, v232                             // 000000007998: 0B31D198
	v_mul_f32_e32 v153, v153, v233                             // 00000000799C: 0B33D399
	v_mul_f32_e32 v154, v154, v234                             // 0000000079A0: 0B35D59A
	v_mul_f32_e32 v155, v155, v235                             // 0000000079A4: 0B37D79B
	v_pk_mul_f32 v[4:5], v[156:157], v[156:157]                // 0000000079A8: D3B14004 1803399C
	v_pk_mul_f32 v[6:7], v[158:159], v[158:159]                // 0000000079B0: D3B14006 18033D9E
	v_pk_fma_f32 v[4:5], v[4:5], s[78:79], v[8:9]              // 0000000079B8: D3B04004 1C209D04
	v_pk_fma_f32 v[6:7], v[6:7], s[78:79], v[8:9]              // 0000000079C0: D3B04006 1C209D06
	v_pk_mul_f32 v[4:5], v[4:5], v[156:157]                    // 0000000079C8: D3B14004 18033904
	v_pk_mul_f32 v[6:7], v[6:7], v[158:159]                    // 0000000079D0: D3B14006 18033D06
	v_pk_mul_f32 v[4:5], v[4:5], s[60:61]                      // 0000000079D8: D3B14004 18007904
	v_pk_mul_f32 v[6:7], v[6:7], s[60:61]                      // 0000000079E0: D3B14006 18007906
	v_exp_f32_e32 v4, v4                                       // 0000000079E8: 7E084104
	v_exp_f32_e32 v5, v5                                       // 0000000079EC: 7E0A4105
	v_exp_f32_e32 v6, v6                                       // 0000000079F0: 7E0C4106
	v_exp_f32_e32 v7, v7                                       // 0000000079F4: 7E0E4107
	v_add_f32_e64 v4, v4, 1.0                                  // 0000000079F8: D1010004 0001E504
	v_add_f32_e64 v5, v5, 1.0                                  // 000000007A00: D1010005 0001E505
	v_add_f32_e64 v6, v6, 1.0                                  // 000000007A08: D1010006 0001E506
	v_add_f32_e64 v7, v7, 1.0                                  // 000000007A10: D1010007 0001E507
	v_rcp_f32_e32 v4, v4                                       // 000000007A18: 7E084504
	v_rcp_f32_e32 v5, v5                                       // 000000007A1C: 7E0A4505
	v_rcp_f32_e32 v6, v6                                       // 000000007A20: 7E0C4506
	v_rcp_f32_e32 v7, v7                                       // 000000007A24: 7E0E4507
	v_mul_f32_e32 v156, v156, v4                               // 000000007A28: 0B38099C
	v_mul_f32_e32 v157, v157, v5                               // 000000007A2C: 0B3A0B9D
	v_mul_f32_e32 v158, v158, v6                               // 000000007A30: 0B3C0D9E
	v_mul_f32_e32 v159, v159, v7                               // 000000007A34: 0B3E0F9F
	v_mul_f32_e32 v156, v156, v236                             // 000000007A38: 0B39D99C
	v_mul_f32_e32 v157, v157, v237                             // 000000007A3C: 0B3BDB9D
	v_mul_f32_e32 v158, v158, v238                             // 000000007A40: 0B3DDD9E
	v_mul_f32_e32 v159, v159, v239                             // 000000007A44: 0B3FDF9F
	v_pk_mul_f32 v[4:5], v[160:161], v[160:161]                // 000000007A48: D3B14004 180341A0
	v_pk_mul_f32 v[6:7], v[162:163], v[162:163]                // 000000007A50: D3B14006 180345A2
	v_pk_fma_f32 v[4:5], v[4:5], s[78:79], v[8:9]              // 000000007A58: D3B04004 1C209D04
	v_pk_fma_f32 v[6:7], v[6:7], s[78:79], v[8:9]              // 000000007A60: D3B04006 1C209D06
	v_pk_mul_f32 v[4:5], v[4:5], v[160:161]                    // 000000007A68: D3B14004 18034104
	v_pk_mul_f32 v[6:7], v[6:7], v[162:163]                    // 000000007A70: D3B14006 18034506
	v_pk_mul_f32 v[4:5], v[4:5], s[60:61]                      // 000000007A78: D3B14004 18007904
	v_pk_mul_f32 v[6:7], v[6:7], s[60:61]                      // 000000007A80: D3B14006 18007906
	v_exp_f32_e32 v4, v4                                       // 000000007A88: 7E084104
	v_exp_f32_e32 v5, v5                                       // 000000007A8C: 7E0A4105
	v_exp_f32_e32 v6, v6                                       // 000000007A90: 7E0C4106
	v_exp_f32_e32 v7, v7                                       // 000000007A94: 7E0E4107
	v_add_f32_e64 v4, v4, 1.0                                  // 000000007A98: D1010004 0001E504
	v_add_f32_e64 v5, v5, 1.0                                  // 000000007AA0: D1010005 0001E505
	v_add_f32_e64 v6, v6, 1.0                                  // 000000007AA8: D1010006 0001E506
	v_add_f32_e64 v7, v7, 1.0                                  // 000000007AB0: D1010007 0001E507
	v_rcp_f32_e32 v4, v4                                       // 000000007AB8: 7E084504
	v_rcp_f32_e32 v5, v5                                       // 000000007ABC: 7E0A4505
	v_rcp_f32_e32 v6, v6                                       // 000000007AC0: 7E0C4506
	v_rcp_f32_e32 v7, v7                                       // 000000007AC4: 7E0E4507
	v_mul_f32_e32 v160, v160, v4                               // 000000007AC8: 0B4009A0
	v_mul_f32_e32 v161, v161, v5                               // 000000007ACC: 0B420BA1
	v_mul_f32_e32 v162, v162, v6                               // 000000007AD0: 0B440DA2
	v_mul_f32_e32 v163, v163, v7                               // 000000007AD4: 0B460FA3
	v_mul_f32_e32 v160, v160, v240                             // 000000007AD8: 0B41E1A0
	v_mul_f32_e32 v161, v161, v241                             // 000000007ADC: 0B43E3A1
	v_mul_f32_e32 v162, v162, v242                             // 000000007AE0: 0B45E5A2
	v_mul_f32_e32 v163, v163, v243                             // 000000007AE4: 0B47E7A3
	v_pk_mul_f32 v[4:5], v[164:165], v[164:165]                // 000000007AE8: D3B14004 180349A4
	v_pk_mul_f32 v[6:7], v[166:167], v[166:167]                // 000000007AF0: D3B14006 18034DA6
	v_pk_fma_f32 v[4:5], v[4:5], s[78:79], v[8:9]              // 000000007AF8: D3B04004 1C209D04
	v_pk_fma_f32 v[6:7], v[6:7], s[78:79], v[8:9]              // 000000007B00: D3B04006 1C209D06
	v_pk_mul_f32 v[4:5], v[4:5], v[164:165]                    // 000000007B08: D3B14004 18034904
	v_pk_mul_f32 v[6:7], v[6:7], v[166:167]                    // 000000007B10: D3B14006 18034D06
	v_pk_mul_f32 v[4:5], v[4:5], s[60:61]                      // 000000007B18: D3B14004 18007904
	v_pk_mul_f32 v[6:7], v[6:7], s[60:61]                      // 000000007B20: D3B14006 18007906
	v_exp_f32_e32 v4, v4                                       // 000000007B28: 7E084104
	v_exp_f32_e32 v5, v5                                       // 000000007B2C: 7E0A4105
	v_exp_f32_e32 v6, v6                                       // 000000007B30: 7E0C4106
	v_exp_f32_e32 v7, v7                                       // 000000007B34: 7E0E4107
	v_add_f32_e64 v4, v4, 1.0                                  // 000000007B38: D1010004 0001E504
	v_add_f32_e64 v5, v5, 1.0                                  // 000000007B40: D1010005 0001E505
	v_add_f32_e64 v6, v6, 1.0                                  // 000000007B48: D1010006 0001E506
	v_add_f32_e64 v7, v7, 1.0                                  // 000000007B50: D1010007 0001E507
	v_rcp_f32_e32 v4, v4                                       // 000000007B58: 7E084504
	v_rcp_f32_e32 v5, v5                                       // 000000007B5C: 7E0A4505
	v_rcp_f32_e32 v6, v6                                       // 000000007B60: 7E0C4506
	v_rcp_f32_e32 v7, v7                                       // 000000007B64: 7E0E4507
	v_mul_f32_e32 v164, v164, v4                               // 000000007B68: 0B4809A4
	v_mul_f32_e32 v165, v165, v5                               // 000000007B6C: 0B4A0BA5
	v_mul_f32_e32 v166, v166, v6                               // 000000007B70: 0B4C0DA6
	v_mul_f32_e32 v167, v167, v7                               // 000000007B74: 0B4E0FA7
	v_mul_f32_e32 v164, v164, v244                             // 000000007B78: 0B49E9A4
	v_mul_f32_e32 v165, v165, v245                             // 000000007B7C: 0B4BEBA5
	v_mul_f32_e32 v166, v166, v246                             // 000000007B80: 0B4DEDA6
	v_mul_f32_e32 v167, v167, v247                             // 000000007B84: 0B4FEFA7
	v_pk_mul_f32 v[4:5], v[168:169], v[168:169]                // 000000007B88: D3B14004 180351A8
	v_pk_mul_f32 v[6:7], v[170:171], v[170:171]                // 000000007B90: D3B14006 180355AA
	v_pk_fma_f32 v[4:5], v[4:5], s[78:79], v[8:9]              // 000000007B98: D3B04004 1C209D04
	v_pk_fma_f32 v[6:7], v[6:7], s[78:79], v[8:9]              // 000000007BA0: D3B04006 1C209D06
	v_pk_mul_f32 v[4:5], v[4:5], v[168:169]                    // 000000007BA8: D3B14004 18035104
	v_pk_mul_f32 v[6:7], v[6:7], v[170:171]                    // 000000007BB0: D3B14006 18035506
	v_pk_mul_f32 v[4:5], v[4:5], s[60:61]                      // 000000007BB8: D3B14004 18007904
	v_pk_mul_f32 v[6:7], v[6:7], s[60:61]                      // 000000007BC0: D3B14006 18007906
	v_exp_f32_e32 v4, v4                                       // 000000007BC8: 7E084104
	v_exp_f32_e32 v5, v5                                       // 000000007BCC: 7E0A4105
	v_exp_f32_e32 v6, v6                                       // 000000007BD0: 7E0C4106
	v_exp_f32_e32 v7, v7                                       // 000000007BD4: 7E0E4107
	v_add_f32_e64 v4, v4, 1.0                                  // 000000007BD8: D1010004 0001E504
	v_add_f32_e64 v5, v5, 1.0                                  // 000000007BE0: D1010005 0001E505
	v_add_f32_e64 v6, v6, 1.0                                  // 000000007BE8: D1010006 0001E506
	v_add_f32_e64 v7, v7, 1.0                                  // 000000007BF0: D1010007 0001E507
	v_rcp_f32_e32 v4, v4                                       // 000000007BF8: 7E084504
	v_rcp_f32_e32 v5, v5                                       // 000000007BFC: 7E0A4505
	v_rcp_f32_e32 v6, v6                                       // 000000007C00: 7E0C4506
	v_rcp_f32_e32 v7, v7                                       // 000000007C04: 7E0E4507
	v_mul_f32_e32 v168, v168, v4                               // 000000007C08: 0B5009A8
	v_mul_f32_e32 v169, v169, v5                               // 000000007C0C: 0B520BA9
	v_mul_f32_e32 v170, v170, v6                               // 000000007C10: 0B540DAA
	v_mul_f32_e32 v171, v171, v7                               // 000000007C14: 0B560FAB
	v_mul_f32_e32 v168, v168, v248                             // 000000007C18: 0B51F1A8
	v_mul_f32_e32 v169, v169, v249                             // 000000007C1C: 0B53F3A9
	v_mul_f32_e32 v170, v170, v250                             // 000000007C20: 0B55F5AA
	v_mul_f32_e32 v171, v171, v251                             // 000000007C24: 0B57F7AB
	s_branch label_170B                                        // 000000007C28: BF820280

0000000000007c2c <label_148B>:
	v_mul_f32_e64 v4, -v92, s6                                 // 000000007C2C: D1050004 20000D5C
	v_mul_f32_e64 v5, -v93, s6                                 // 000000007C34: D1050005 20000D5D
	v_mul_f32_e64 v6, -v94, s6                                 // 000000007C3C: D1050006 20000D5E
	v_mul_f32_e64 v7, -v95, s6                                 // 000000007C44: D1050007 20000D5F
	v_exp_f32_e32 v4, v4                                       // 000000007C4C: 7E084104
	v_exp_f32_e32 v5, v5                                       // 000000007C50: 7E0A4105
	v_exp_f32_e32 v6, v6                                       // 000000007C54: 7E0C4106
	v_exp_f32_e32 v7, v7                                       // 000000007C58: 7E0E4107
	v_add_f32_e64 v4, v4, 1.0                                  // 000000007C5C: D1010004 0001E504
	v_add_f32_e64 v5, v5, 1.0                                  // 000000007C64: D1010005 0001E505
	v_add_f32_e64 v6, v6, 1.0                                  // 000000007C6C: D1010006 0001E506
	v_add_f32_e64 v7, v7, 1.0                                  // 000000007C74: D1010007 0001E507
	v_rcp_f32_e32 v4, v4                                       // 000000007C7C: 7E084504
	v_rcp_f32_e32 v5, v5                                       // 000000007C80: 7E0A4505
	v_rcp_f32_e32 v6, v6                                       // 000000007C84: 7E0C4506
	v_rcp_f32_e32 v7, v7                                       // 000000007C88: 7E0E4507
	v_mul_f32_e32 v92, v92, v4                                 // 000000007C8C: 0AB8095C
	v_mul_f32_e32 v93, v93, v5                                 // 000000007C90: 0ABA0B5D
	v_mul_f32_e32 v94, v94, v6                                 // 000000007C94: 0ABC0D5E
	v_mul_f32_e32 v95, v95, v7                                 // 000000007C98: 0ABE0F5F
	v_mul_f32_e32 v92, v92, v172                               // 000000007C9C: 0AB9595C
	v_mul_f32_e32 v93, v93, v173                               // 000000007CA0: 0ABB5B5D
	v_mul_f32_e32 v94, v94, v174                               // 000000007CA4: 0ABD5D5E
	v_mul_f32_e32 v95, v95, v175                               // 000000007CA8: 0ABF5F5F
	v_mul_f32_e64 v4, -v96, s6                                 // 000000007CAC: D1050004 20000D60
	v_mul_f32_e64 v5, -v97, s6                                 // 000000007CB4: D1050005 20000D61
	v_mul_f32_e64 v6, -v98, s6                                 // 000000007CBC: D1050006 20000D62
	v_mul_f32_e64 v7, -v99, s6                                 // 000000007CC4: D1050007 20000D63
	v_exp_f32_e32 v4, v4                                       // 000000007CCC: 7E084104
	v_exp_f32_e32 v5, v5                                       // 000000007CD0: 7E0A4105
	v_exp_f32_e32 v6, v6                                       // 000000007CD4: 7E0C4106
	v_exp_f32_e32 v7, v7                                       // 000000007CD8: 7E0E4107
	v_add_f32_e64 v4, v4, 1.0                                  // 000000007CDC: D1010004 0001E504
	v_add_f32_e64 v5, v5, 1.0                                  // 000000007CE4: D1010005 0001E505
	v_add_f32_e64 v6, v6, 1.0                                  // 000000007CEC: D1010006 0001E506
	v_add_f32_e64 v7, v7, 1.0                                  // 000000007CF4: D1010007 0001E507
	v_rcp_f32_e32 v4, v4                                       // 000000007CFC: 7E084504
	v_rcp_f32_e32 v5, v5                                       // 000000007D00: 7E0A4505
	v_rcp_f32_e32 v6, v6                                       // 000000007D04: 7E0C4506
	v_rcp_f32_e32 v7, v7                                       // 000000007D08: 7E0E4507
	v_mul_f32_e32 v96, v96, v4                                 // 000000007D0C: 0AC00960
	v_mul_f32_e32 v97, v97, v5                                 // 000000007D10: 0AC20B61
	v_mul_f32_e32 v98, v98, v6                                 // 000000007D14: 0AC40D62
	v_mul_f32_e32 v99, v99, v7                                 // 000000007D18: 0AC60F63
	v_mul_f32_e32 v96, v96, v176                               // 000000007D1C: 0AC16160
	v_mul_f32_e32 v97, v97, v177                               // 000000007D20: 0AC36361
	v_mul_f32_e32 v98, v98, v178                               // 000000007D24: 0AC56562
	v_mul_f32_e32 v99, v99, v179                               // 000000007D28: 0AC76763
	v_mul_f32_e64 v4, -v100, s6                                // 000000007D2C: D1050004 20000D64
	v_mul_f32_e64 v5, -v101, s6                                // 000000007D34: D1050005 20000D65
	v_mul_f32_e64 v6, -v102, s6                                // 000000007D3C: D1050006 20000D66
	v_mul_f32_e64 v7, -v103, s6                                // 000000007D44: D1050007 20000D67
	v_exp_f32_e32 v4, v4                                       // 000000007D4C: 7E084104
	v_exp_f32_e32 v5, v5                                       // 000000007D50: 7E0A4105
	v_exp_f32_e32 v6, v6                                       // 000000007D54: 7E0C4106
	v_exp_f32_e32 v7, v7                                       // 000000007D58: 7E0E4107
	v_add_f32_e64 v4, v4, 1.0                                  // 000000007D5C: D1010004 0001E504
	v_add_f32_e64 v5, v5, 1.0                                  // 000000007D64: D1010005 0001E505
	v_add_f32_e64 v6, v6, 1.0                                  // 000000007D6C: D1010006 0001E506
	v_add_f32_e64 v7, v7, 1.0                                  // 000000007D74: D1010007 0001E507
	v_rcp_f32_e32 v4, v4                                       // 000000007D7C: 7E084504
	v_rcp_f32_e32 v5, v5                                       // 000000007D80: 7E0A4505
	v_rcp_f32_e32 v6, v6                                       // 000000007D84: 7E0C4506
	v_rcp_f32_e32 v7, v7                                       // 000000007D88: 7E0E4507
	v_mul_f32_e32 v100, v100, v4                               // 000000007D8C: 0AC80964
	v_mul_f32_e32 v101, v101, v5                               // 000000007D90: 0ACA0B65
	v_mul_f32_e32 v102, v102, v6                               // 000000007D94: 0ACC0D66
	v_mul_f32_e32 v103, v103, v7                               // 000000007D98: 0ACE0F67
	v_mul_f32_e32 v100, v100, v180                             // 000000007D9C: 0AC96964
	v_mul_f32_e32 v101, v101, v181                             // 000000007DA0: 0ACB6B65
	v_mul_f32_e32 v102, v102, v182                             // 000000007DA4: 0ACD6D66
	v_mul_f32_e32 v103, v103, v183                             // 000000007DA8: 0ACF6F67
	v_mul_f32_e64 v4, -v104, s6                                // 000000007DAC: D1050004 20000D68
	v_mul_f32_e64 v5, -v105, s6                                // 000000007DB4: D1050005 20000D69
	v_mul_f32_e64 v6, -v106, s6                                // 000000007DBC: D1050006 20000D6A
	v_mul_f32_e64 v7, -v107, s6                                // 000000007DC4: D1050007 20000D6B
	v_exp_f32_e32 v4, v4                                       // 000000007DCC: 7E084104
	v_exp_f32_e32 v5, v5                                       // 000000007DD0: 7E0A4105
	v_exp_f32_e32 v6, v6                                       // 000000007DD4: 7E0C4106
	v_exp_f32_e32 v7, v7                                       // 000000007DD8: 7E0E4107
	v_add_f32_e64 v4, v4, 1.0                                  // 000000007DDC: D1010004 0001E504
	v_add_f32_e64 v5, v5, 1.0                                  // 000000007DE4: D1010005 0001E505
	v_add_f32_e64 v6, v6, 1.0                                  // 000000007DEC: D1010006 0001E506
	v_add_f32_e64 v7, v7, 1.0                                  // 000000007DF4: D1010007 0001E507
	v_rcp_f32_e32 v4, v4                                       // 000000007DFC: 7E084504
	v_rcp_f32_e32 v5, v5                                       // 000000007E00: 7E0A4505
	v_rcp_f32_e32 v6, v6                                       // 000000007E04: 7E0C4506
	v_rcp_f32_e32 v7, v7                                       // 000000007E08: 7E0E4507
	v_mul_f32_e32 v104, v104, v4                               // 000000007E0C: 0AD00968
	v_mul_f32_e32 v105, v105, v5                               // 000000007E10: 0AD20B69
	v_mul_f32_e32 v106, v106, v6                               // 000000007E14: 0AD40D6A
	v_mul_f32_e32 v107, v107, v7                               // 000000007E18: 0AD60F6B
	v_mul_f32_e32 v104, v104, v184                             // 000000007E1C: 0AD17168
	v_mul_f32_e32 v105, v105, v185                             // 000000007E20: 0AD37369
	v_mul_f32_e32 v106, v106, v186                             // 000000007E24: 0AD5756A
	v_mul_f32_e32 v107, v107, v187                             // 000000007E28: 0AD7776B
	v_mul_f32_e64 v4, -v108, s6                                // 000000007E2C: D1050004 20000D6C
	v_mul_f32_e64 v5, -v109, s6                                // 000000007E34: D1050005 20000D6D
	v_mul_f32_e64 v6, -v110, s6                                // 000000007E3C: D1050006 20000D6E
	v_mul_f32_e64 v7, -v111, s6                                // 000000007E44: D1050007 20000D6F
	v_exp_f32_e32 v4, v4                                       // 000000007E4C: 7E084104
	v_exp_f32_e32 v5, v5                                       // 000000007E50: 7E0A4105
	v_exp_f32_e32 v6, v6                                       // 000000007E54: 7E0C4106
	v_exp_f32_e32 v7, v7                                       // 000000007E58: 7E0E4107
	v_add_f32_e64 v4, v4, 1.0                                  // 000000007E5C: D1010004 0001E504
	v_add_f32_e64 v5, v5, 1.0                                  // 000000007E64: D1010005 0001E505
	v_add_f32_e64 v6, v6, 1.0                                  // 000000007E6C: D1010006 0001E506
	v_add_f32_e64 v7, v7, 1.0                                  // 000000007E74: D1010007 0001E507
	v_rcp_f32_e32 v4, v4                                       // 000000007E7C: 7E084504
	v_rcp_f32_e32 v5, v5                                       // 000000007E80: 7E0A4505
	v_rcp_f32_e32 v6, v6                                       // 000000007E84: 7E0C4506
	v_rcp_f32_e32 v7, v7                                       // 000000007E88: 7E0E4507
	v_mul_f32_e32 v108, v108, v4                               // 000000007E8C: 0AD8096C
	v_mul_f32_e32 v109, v109, v5                               // 000000007E90: 0ADA0B6D
	v_mul_f32_e32 v110, v110, v6                               // 000000007E94: 0ADC0D6E
	v_mul_f32_e32 v111, v111, v7                               // 000000007E98: 0ADE0F6F
	v_mul_f32_e32 v108, v108, v188                             // 000000007E9C: 0AD9796C
	v_mul_f32_e32 v109, v109, v189                             // 000000007EA0: 0ADB7B6D
	v_mul_f32_e32 v110, v110, v190                             // 000000007EA4: 0ADD7D6E
	v_mul_f32_e32 v111, v111, v191                             // 000000007EA8: 0ADF7F6F
	v_mul_f32_e64 v4, -v112, s6                                // 000000007EAC: D1050004 20000D70
	v_mul_f32_e64 v5, -v113, s6                                // 000000007EB4: D1050005 20000D71
	v_mul_f32_e64 v6, -v114, s6                                // 000000007EBC: D1050006 20000D72
	v_mul_f32_e64 v7, -v115, s6                                // 000000007EC4: D1050007 20000D73
	v_exp_f32_e32 v4, v4                                       // 000000007ECC: 7E084104
	v_exp_f32_e32 v5, v5                                       // 000000007ED0: 7E0A4105
	v_exp_f32_e32 v6, v6                                       // 000000007ED4: 7E0C4106
	v_exp_f32_e32 v7, v7                                       // 000000007ED8: 7E0E4107
	v_add_f32_e64 v4, v4, 1.0                                  // 000000007EDC: D1010004 0001E504
	v_add_f32_e64 v5, v5, 1.0                                  // 000000007EE4: D1010005 0001E505
	v_add_f32_e64 v6, v6, 1.0                                  // 000000007EEC: D1010006 0001E506
	v_add_f32_e64 v7, v7, 1.0                                  // 000000007EF4: D1010007 0001E507
	v_rcp_f32_e32 v4, v4                                       // 000000007EFC: 7E084504
	v_rcp_f32_e32 v5, v5                                       // 000000007F00: 7E0A4505
	v_rcp_f32_e32 v6, v6                                       // 000000007F04: 7E0C4506
	v_rcp_f32_e32 v7, v7                                       // 000000007F08: 7E0E4507
	v_mul_f32_e32 v112, v112, v4                               // 000000007F0C: 0AE00970
	v_mul_f32_e32 v113, v113, v5                               // 000000007F10: 0AE20B71
	v_mul_f32_e32 v114, v114, v6                               // 000000007F14: 0AE40D72
	v_mul_f32_e32 v115, v115, v7                               // 000000007F18: 0AE60F73
	v_mul_f32_e32 v112, v112, v192                             // 000000007F1C: 0AE18170
	v_mul_f32_e32 v113, v113, v193                             // 000000007F20: 0AE38371
	v_mul_f32_e32 v114, v114, v194                             // 000000007F24: 0AE58572
	v_mul_f32_e32 v115, v115, v195                             // 000000007F28: 0AE78773
	v_mul_f32_e64 v4, -v116, s6                                // 000000007F2C: D1050004 20000D74
	v_mul_f32_e64 v5, -v117, s6                                // 000000007F34: D1050005 20000D75
	v_mul_f32_e64 v6, -v118, s6                                // 000000007F3C: D1050006 20000D76
	v_mul_f32_e64 v7, -v119, s6                                // 000000007F44: D1050007 20000D77
	v_exp_f32_e32 v4, v4                                       // 000000007F4C: 7E084104
	v_exp_f32_e32 v5, v5                                       // 000000007F50: 7E0A4105
	v_exp_f32_e32 v6, v6                                       // 000000007F54: 7E0C4106
	v_exp_f32_e32 v7, v7                                       // 000000007F58: 7E0E4107
	v_add_f32_e64 v4, v4, 1.0                                  // 000000007F5C: D1010004 0001E504
	v_add_f32_e64 v5, v5, 1.0                                  // 000000007F64: D1010005 0001E505
	v_add_f32_e64 v6, v6, 1.0                                  // 000000007F6C: D1010006 0001E506
	v_add_f32_e64 v7, v7, 1.0                                  // 000000007F74: D1010007 0001E507
	v_rcp_f32_e32 v4, v4                                       // 000000007F7C: 7E084504
	v_rcp_f32_e32 v5, v5                                       // 000000007F80: 7E0A4505
	v_rcp_f32_e32 v6, v6                                       // 000000007F84: 7E0C4506
	v_rcp_f32_e32 v7, v7                                       // 000000007F88: 7E0E4507
	v_mul_f32_e32 v116, v116, v4                               // 000000007F8C: 0AE80974
	v_mul_f32_e32 v117, v117, v5                               // 000000007F90: 0AEA0B75
	v_mul_f32_e32 v118, v118, v6                               // 000000007F94: 0AEC0D76
	v_mul_f32_e32 v119, v119, v7                               // 000000007F98: 0AEE0F77
	v_mul_f32_e32 v116, v116, v196                             // 000000007F9C: 0AE98974
	v_mul_f32_e32 v117, v117, v197                             // 000000007FA0: 0AEB8B75
	v_mul_f32_e32 v118, v118, v198                             // 000000007FA4: 0AED8D76
	v_mul_f32_e32 v119, v119, v199                             // 000000007FA8: 0AEF8F77
	v_mul_f32_e64 v4, -v120, s6                                // 000000007FAC: D1050004 20000D78
	v_mul_f32_e64 v5, -v121, s6                                // 000000007FB4: D1050005 20000D79
	v_mul_f32_e64 v6, -v122, s6                                // 000000007FBC: D1050006 20000D7A
	v_mul_f32_e64 v7, -v123, s6                                // 000000007FC4: D1050007 20000D7B
	v_exp_f32_e32 v4, v4                                       // 000000007FCC: 7E084104
	v_exp_f32_e32 v5, v5                                       // 000000007FD0: 7E0A4105
	v_exp_f32_e32 v6, v6                                       // 000000007FD4: 7E0C4106
	v_exp_f32_e32 v7, v7                                       // 000000007FD8: 7E0E4107
	v_add_f32_e64 v4, v4, 1.0                                  // 000000007FDC: D1010004 0001E504
	v_add_f32_e64 v5, v5, 1.0                                  // 000000007FE4: D1010005 0001E505
	v_add_f32_e64 v6, v6, 1.0                                  // 000000007FEC: D1010006 0001E506
	v_add_f32_e64 v7, v7, 1.0                                  // 000000007FF4: D1010007 0001E507
	v_rcp_f32_e32 v4, v4                                       // 000000007FFC: 7E084504
	v_rcp_f32_e32 v5, v5                                       // 000000008000: 7E0A4505
	v_rcp_f32_e32 v6, v6                                       // 000000008004: 7E0C4506
	v_rcp_f32_e32 v7, v7                                       // 000000008008: 7E0E4507
	v_mul_f32_e32 v120, v120, v4                               // 00000000800C: 0AF00978
	v_mul_f32_e32 v121, v121, v5                               // 000000008010: 0AF20B79
	v_mul_f32_e32 v122, v122, v6                               // 000000008014: 0AF40D7A
	v_mul_f32_e32 v123, v123, v7                               // 000000008018: 0AF60F7B
	v_mul_f32_e32 v120, v120, v200                             // 00000000801C: 0AF19178
	v_mul_f32_e32 v121, v121, v201                             // 000000008020: 0AF39379
	v_mul_f32_e32 v122, v122, v202                             // 000000008024: 0AF5957A
	v_mul_f32_e32 v123, v123, v203                             // 000000008028: 0AF7977B
	v_mul_f32_e64 v4, -v124, s6                                // 00000000802C: D1050004 20000D7C
	v_mul_f32_e64 v5, -v125, s6                                // 000000008034: D1050005 20000D7D
	v_mul_f32_e64 v6, -v126, s6                                // 00000000803C: D1050006 20000D7E
	v_mul_f32_e64 v7, -v127, s6                                // 000000008044: D1050007 20000D7F
	v_exp_f32_e32 v4, v4                                       // 00000000804C: 7E084104
	v_exp_f32_e32 v5, v5                                       // 000000008050: 7E0A4105
	v_exp_f32_e32 v6, v6                                       // 000000008054: 7E0C4106
	v_exp_f32_e32 v7, v7                                       // 000000008058: 7E0E4107
	v_add_f32_e64 v4, v4, 1.0                                  // 00000000805C: D1010004 0001E504
	v_add_f32_e64 v5, v5, 1.0                                  // 000000008064: D1010005 0001E505
	v_add_f32_e64 v6, v6, 1.0                                  // 00000000806C: D1010006 0001E506
	v_add_f32_e64 v7, v7, 1.0                                  // 000000008074: D1010007 0001E507
	v_rcp_f32_e32 v4, v4                                       // 00000000807C: 7E084504
	v_rcp_f32_e32 v5, v5                                       // 000000008080: 7E0A4505
	v_rcp_f32_e32 v6, v6                                       // 000000008084: 7E0C4506
	v_rcp_f32_e32 v7, v7                                       // 000000008088: 7E0E4507
	v_mul_f32_e32 v124, v124, v4                               // 00000000808C: 0AF8097C
	v_mul_f32_e32 v125, v125, v5                               // 000000008090: 0AFA0B7D
	v_mul_f32_e32 v126, v126, v6                               // 000000008094: 0AFC0D7E
	v_mul_f32_e32 v127, v127, v7                               // 000000008098: 0AFE0F7F
	v_mul_f32_e32 v124, v124, v204                             // 00000000809C: 0AF9997C
	v_mul_f32_e32 v125, v125, v205                             // 0000000080A0: 0AFB9B7D
	v_mul_f32_e32 v126, v126, v206                             // 0000000080A4: 0AFD9D7E
	v_mul_f32_e32 v127, v127, v207                             // 0000000080A8: 0AFF9F7F
	v_mul_f32_e64 v4, -v128, s6                                // 0000000080AC: D1050004 20000D80
	v_mul_f32_e64 v5, -v129, s6                                // 0000000080B4: D1050005 20000D81
	v_mul_f32_e64 v6, -v130, s6                                // 0000000080BC: D1050006 20000D82
	v_mul_f32_e64 v7, -v131, s6                                // 0000000080C4: D1050007 20000D83
	v_exp_f32_e32 v4, v4                                       // 0000000080CC: 7E084104
	v_exp_f32_e32 v5, v5                                       // 0000000080D0: 7E0A4105
	v_exp_f32_e32 v6, v6                                       // 0000000080D4: 7E0C4106
	v_exp_f32_e32 v7, v7                                       // 0000000080D8: 7E0E4107
	v_add_f32_e64 v4, v4, 1.0                                  // 0000000080DC: D1010004 0001E504
	v_add_f32_e64 v5, v5, 1.0                                  // 0000000080E4: D1010005 0001E505
	v_add_f32_e64 v6, v6, 1.0                                  // 0000000080EC: D1010006 0001E506
	v_add_f32_e64 v7, v7, 1.0                                  // 0000000080F4: D1010007 0001E507
	v_rcp_f32_e32 v4, v4                                       // 0000000080FC: 7E084504
	v_rcp_f32_e32 v5, v5                                       // 000000008100: 7E0A4505
	v_rcp_f32_e32 v6, v6                                       // 000000008104: 7E0C4506
	v_rcp_f32_e32 v7, v7                                       // 000000008108: 7E0E4507
	v_mul_f32_e32 v128, v128, v4                               // 00000000810C: 0B000980
	v_mul_f32_e32 v129, v129, v5                               // 000000008110: 0B020B81
	v_mul_f32_e32 v130, v130, v6                               // 000000008114: 0B040D82
	v_mul_f32_e32 v131, v131, v7                               // 000000008118: 0B060F83
	v_mul_f32_e32 v128, v128, v208                             // 00000000811C: 0B01A180
	v_mul_f32_e32 v129, v129, v209                             // 000000008120: 0B03A381
	v_mul_f32_e32 v130, v130, v210                             // 000000008124: 0B05A582
	v_mul_f32_e32 v131, v131, v211                             // 000000008128: 0B07A783
	v_mul_f32_e64 v4, -v132, s6                                // 00000000812C: D1050004 20000D84
	v_mul_f32_e64 v5, -v133, s6                                // 000000008134: D1050005 20000D85
	v_mul_f32_e64 v6, -v134, s6                                // 00000000813C: D1050006 20000D86
	v_mul_f32_e64 v7, -v135, s6                                // 000000008144: D1050007 20000D87
	v_exp_f32_e32 v4, v4                                       // 00000000814C: 7E084104
	v_exp_f32_e32 v5, v5                                       // 000000008150: 7E0A4105
	v_exp_f32_e32 v6, v6                                       // 000000008154: 7E0C4106
	v_exp_f32_e32 v7, v7                                       // 000000008158: 7E0E4107
	v_add_f32_e64 v4, v4, 1.0                                  // 00000000815C: D1010004 0001E504
	v_add_f32_e64 v5, v5, 1.0                                  // 000000008164: D1010005 0001E505
	v_add_f32_e64 v6, v6, 1.0                                  // 00000000816C: D1010006 0001E506
	v_add_f32_e64 v7, v7, 1.0                                  // 000000008174: D1010007 0001E507
	v_rcp_f32_e32 v4, v4                                       // 00000000817C: 7E084504
	v_rcp_f32_e32 v5, v5                                       // 000000008180: 7E0A4505
	v_rcp_f32_e32 v6, v6                                       // 000000008184: 7E0C4506
	v_rcp_f32_e32 v7, v7                                       // 000000008188: 7E0E4507
	v_mul_f32_e32 v132, v132, v4                               // 00000000818C: 0B080984
	v_mul_f32_e32 v133, v133, v5                               // 000000008190: 0B0A0B85
	v_mul_f32_e32 v134, v134, v6                               // 000000008194: 0B0C0D86
	v_mul_f32_e32 v135, v135, v7                               // 000000008198: 0B0E0F87
	v_mul_f32_e32 v132, v132, v212                             // 00000000819C: 0B09A984
	v_mul_f32_e32 v133, v133, v213                             // 0000000081A0: 0B0BAB85
	v_mul_f32_e32 v134, v134, v214                             // 0000000081A4: 0B0DAD86
	v_mul_f32_e32 v135, v135, v215                             // 0000000081A8: 0B0FAF87
	v_mul_f32_e64 v4, -v136, s6                                // 0000000081AC: D1050004 20000D88
	v_mul_f32_e64 v5, -v137, s6                                // 0000000081B4: D1050005 20000D89
	v_mul_f32_e64 v6, -v138, s6                                // 0000000081BC: D1050006 20000D8A
	v_mul_f32_e64 v7, -v139, s6                                // 0000000081C4: D1050007 20000D8B
	v_exp_f32_e32 v4, v4                                       // 0000000081CC: 7E084104
	v_exp_f32_e32 v5, v5                                       // 0000000081D0: 7E0A4105
	v_exp_f32_e32 v6, v6                                       // 0000000081D4: 7E0C4106
	v_exp_f32_e32 v7, v7                                       // 0000000081D8: 7E0E4107
	v_add_f32_e64 v4, v4, 1.0                                  // 0000000081DC: D1010004 0001E504
	v_add_f32_e64 v5, v5, 1.0                                  // 0000000081E4: D1010005 0001E505
	v_add_f32_e64 v6, v6, 1.0                                  // 0000000081EC: D1010006 0001E506
	v_add_f32_e64 v7, v7, 1.0                                  // 0000000081F4: D1010007 0001E507
	v_rcp_f32_e32 v4, v4                                       // 0000000081FC: 7E084504
	v_rcp_f32_e32 v5, v5                                       // 000000008200: 7E0A4505
	v_rcp_f32_e32 v6, v6                                       // 000000008204: 7E0C4506
	v_rcp_f32_e32 v7, v7                                       // 000000008208: 7E0E4507
	v_mul_f32_e32 v136, v136, v4                               // 00000000820C: 0B100988
	v_mul_f32_e32 v137, v137, v5                               // 000000008210: 0B120B89
	v_mul_f32_e32 v138, v138, v6                               // 000000008214: 0B140D8A
	v_mul_f32_e32 v139, v139, v7                               // 000000008218: 0B160F8B
	v_mul_f32_e32 v136, v136, v216                             // 00000000821C: 0B11B188
	v_mul_f32_e32 v137, v137, v217                             // 000000008220: 0B13B389
	v_mul_f32_e32 v138, v138, v218                             // 000000008224: 0B15B58A
	v_mul_f32_e32 v139, v139, v219                             // 000000008228: 0B17B78B
	v_mul_f32_e64 v4, -v140, s6                                // 00000000822C: D1050004 20000D8C
	v_mul_f32_e64 v5, -v141, s6                                // 000000008234: D1050005 20000D8D
	v_mul_f32_e64 v6, -v142, s6                                // 00000000823C: D1050006 20000D8E
	v_mul_f32_e64 v7, -v143, s6                                // 000000008244: D1050007 20000D8F
	v_exp_f32_e32 v4, v4                                       // 00000000824C: 7E084104
	v_exp_f32_e32 v5, v5                                       // 000000008250: 7E0A4105
	v_exp_f32_e32 v6, v6                                       // 000000008254: 7E0C4106
	v_exp_f32_e32 v7, v7                                       // 000000008258: 7E0E4107
	v_add_f32_e64 v4, v4, 1.0                                  // 00000000825C: D1010004 0001E504
	v_add_f32_e64 v5, v5, 1.0                                  // 000000008264: D1010005 0001E505
	v_add_f32_e64 v6, v6, 1.0                                  // 00000000826C: D1010006 0001E506
	v_add_f32_e64 v7, v7, 1.0                                  // 000000008274: D1010007 0001E507
	v_rcp_f32_e32 v4, v4                                       // 00000000827C: 7E084504
	v_rcp_f32_e32 v5, v5                                       // 000000008280: 7E0A4505
	v_rcp_f32_e32 v6, v6                                       // 000000008284: 7E0C4506
	v_rcp_f32_e32 v7, v7                                       // 000000008288: 7E0E4507
	v_mul_f32_e32 v140, v140, v4                               // 00000000828C: 0B18098C
	v_mul_f32_e32 v141, v141, v5                               // 000000008290: 0B1A0B8D
	v_mul_f32_e32 v142, v142, v6                               // 000000008294: 0B1C0D8E
	v_mul_f32_e32 v143, v143, v7                               // 000000008298: 0B1E0F8F
	v_mul_f32_e32 v140, v140, v220                             // 00000000829C: 0B19B98C
	v_mul_f32_e32 v141, v141, v221                             // 0000000082A0: 0B1BBB8D
	v_mul_f32_e32 v142, v142, v222                             // 0000000082A4: 0B1DBD8E
	v_mul_f32_e32 v143, v143, v223                             // 0000000082A8: 0B1FBF8F
	v_mul_f32_e64 v4, -v144, s6                                // 0000000082AC: D1050004 20000D90
	v_mul_f32_e64 v5, -v145, s6                                // 0000000082B4: D1050005 20000D91
	v_mul_f32_e64 v6, -v146, s6                                // 0000000082BC: D1050006 20000D92
	v_mul_f32_e64 v7, -v147, s6                                // 0000000082C4: D1050007 20000D93
	v_exp_f32_e32 v4, v4                                       // 0000000082CC: 7E084104
	v_exp_f32_e32 v5, v5                                       // 0000000082D0: 7E0A4105
	v_exp_f32_e32 v6, v6                                       // 0000000082D4: 7E0C4106
	v_exp_f32_e32 v7, v7                                       // 0000000082D8: 7E0E4107
	v_add_f32_e64 v4, v4, 1.0                                  // 0000000082DC: D1010004 0001E504
	v_add_f32_e64 v5, v5, 1.0                                  // 0000000082E4: D1010005 0001E505
	v_add_f32_e64 v6, v6, 1.0                                  // 0000000082EC: D1010006 0001E506
	v_add_f32_e64 v7, v7, 1.0                                  // 0000000082F4: D1010007 0001E507
	v_rcp_f32_e32 v4, v4                                       // 0000000082FC: 7E084504
	v_rcp_f32_e32 v5, v5                                       // 000000008300: 7E0A4505
	v_rcp_f32_e32 v6, v6                                       // 000000008304: 7E0C4506
	v_rcp_f32_e32 v7, v7                                       // 000000008308: 7E0E4507
	v_mul_f32_e32 v144, v144, v4                               // 00000000830C: 0B200990
	v_mul_f32_e32 v145, v145, v5                               // 000000008310: 0B220B91
	v_mul_f32_e32 v146, v146, v6                               // 000000008314: 0B240D92
	v_mul_f32_e32 v147, v147, v7                               // 000000008318: 0B260F93
	v_mul_f32_e32 v144, v144, v224                             // 00000000831C: 0B21C190
	v_mul_f32_e32 v145, v145, v225                             // 000000008320: 0B23C391
	v_mul_f32_e32 v146, v146, v226                             // 000000008324: 0B25C592
	v_mul_f32_e32 v147, v147, v227                             // 000000008328: 0B27C793
	v_mul_f32_e64 v4, -v148, s6                                // 00000000832C: D1050004 20000D94
	v_mul_f32_e64 v5, -v149, s6                                // 000000008334: D1050005 20000D95
	v_mul_f32_e64 v6, -v150, s6                                // 00000000833C: D1050006 20000D96
	v_mul_f32_e64 v7, -v151, s6                                // 000000008344: D1050007 20000D97
	v_exp_f32_e32 v4, v4                                       // 00000000834C: 7E084104
	v_exp_f32_e32 v5, v5                                       // 000000008350: 7E0A4105
	v_exp_f32_e32 v6, v6                                       // 000000008354: 7E0C4106
	v_exp_f32_e32 v7, v7                                       // 000000008358: 7E0E4107
	v_add_f32_e64 v4, v4, 1.0                                  // 00000000835C: D1010004 0001E504
	v_add_f32_e64 v5, v5, 1.0                                  // 000000008364: D1010005 0001E505
	v_add_f32_e64 v6, v6, 1.0                                  // 00000000836C: D1010006 0001E506
	v_add_f32_e64 v7, v7, 1.0                                  // 000000008374: D1010007 0001E507
	v_rcp_f32_e32 v4, v4                                       // 00000000837C: 7E084504
	v_rcp_f32_e32 v5, v5                                       // 000000008380: 7E0A4505
	v_rcp_f32_e32 v6, v6                                       // 000000008384: 7E0C4506
	v_rcp_f32_e32 v7, v7                                       // 000000008388: 7E0E4507
	v_mul_f32_e32 v148, v148, v4                               // 00000000838C: 0B280994
	v_mul_f32_e32 v149, v149, v5                               // 000000008390: 0B2A0B95
	v_mul_f32_e32 v150, v150, v6                               // 000000008394: 0B2C0D96
	v_mul_f32_e32 v151, v151, v7                               // 000000008398: 0B2E0F97
	v_mul_f32_e32 v148, v148, v228                             // 00000000839C: 0B29C994
	v_mul_f32_e32 v149, v149, v229                             // 0000000083A0: 0B2BCB95
	v_mul_f32_e32 v150, v150, v230                             // 0000000083A4: 0B2DCD96
	v_mul_f32_e32 v151, v151, v231                             // 0000000083A8: 0B2FCF97
	v_mul_f32_e64 v4, -v152, s6                                // 0000000083AC: D1050004 20000D98
	v_mul_f32_e64 v5, -v153, s6                                // 0000000083B4: D1050005 20000D99
	v_mul_f32_e64 v6, -v154, s6                                // 0000000083BC: D1050006 20000D9A
	v_mul_f32_e64 v7, -v155, s6                                // 0000000083C4: D1050007 20000D9B
	v_exp_f32_e32 v4, v4                                       // 0000000083CC: 7E084104
	v_exp_f32_e32 v5, v5                                       // 0000000083D0: 7E0A4105
	v_exp_f32_e32 v6, v6                                       // 0000000083D4: 7E0C4106
	v_exp_f32_e32 v7, v7                                       // 0000000083D8: 7E0E4107
	v_add_f32_e64 v4, v4, 1.0                                  // 0000000083DC: D1010004 0001E504
	v_add_f32_e64 v5, v5, 1.0                                  // 0000000083E4: D1010005 0001E505
	v_add_f32_e64 v6, v6, 1.0                                  // 0000000083EC: D1010006 0001E506
	v_add_f32_e64 v7, v7, 1.0                                  // 0000000083F4: D1010007 0001E507
	v_rcp_f32_e32 v4, v4                                       // 0000000083FC: 7E084504
	v_rcp_f32_e32 v5, v5                                       // 000000008400: 7E0A4505
	v_rcp_f32_e32 v6, v6                                       // 000000008404: 7E0C4506
	v_rcp_f32_e32 v7, v7                                       // 000000008408: 7E0E4507
	v_mul_f32_e32 v152, v152, v4                               // 00000000840C: 0B300998
	v_mul_f32_e32 v153, v153, v5                               // 000000008410: 0B320B99
	v_mul_f32_e32 v154, v154, v6                               // 000000008414: 0B340D9A
	v_mul_f32_e32 v155, v155, v7                               // 000000008418: 0B360F9B
	v_mul_f32_e32 v152, v152, v232                             // 00000000841C: 0B31D198
	v_mul_f32_e32 v153, v153, v233                             // 000000008420: 0B33D399
	v_mul_f32_e32 v154, v154, v234                             // 000000008424: 0B35D59A
	v_mul_f32_e32 v155, v155, v235                             // 000000008428: 0B37D79B
	v_mul_f32_e64 v4, -v156, s6                                // 00000000842C: D1050004 20000D9C
	v_mul_f32_e64 v5, -v157, s6                                // 000000008434: D1050005 20000D9D
	v_mul_f32_e64 v6, -v158, s6                                // 00000000843C: D1050006 20000D9E
	v_mul_f32_e64 v7, -v159, s6                                // 000000008444: D1050007 20000D9F
	v_exp_f32_e32 v4, v4                                       // 00000000844C: 7E084104
	v_exp_f32_e32 v5, v5                                       // 000000008450: 7E0A4105
	v_exp_f32_e32 v6, v6                                       // 000000008454: 7E0C4106
	v_exp_f32_e32 v7, v7                                       // 000000008458: 7E0E4107
	v_add_f32_e64 v4, v4, 1.0                                  // 00000000845C: D1010004 0001E504
	v_add_f32_e64 v5, v5, 1.0                                  // 000000008464: D1010005 0001E505
	v_add_f32_e64 v6, v6, 1.0                                  // 00000000846C: D1010006 0001E506
	v_add_f32_e64 v7, v7, 1.0                                  // 000000008474: D1010007 0001E507
	v_rcp_f32_e32 v4, v4                                       // 00000000847C: 7E084504
	v_rcp_f32_e32 v5, v5                                       // 000000008480: 7E0A4505
	v_rcp_f32_e32 v6, v6                                       // 000000008484: 7E0C4506
	v_rcp_f32_e32 v7, v7                                       // 000000008488: 7E0E4507
	v_mul_f32_e32 v156, v156, v4                               // 00000000848C: 0B38099C
	v_mul_f32_e32 v157, v157, v5                               // 000000008490: 0B3A0B9D
	v_mul_f32_e32 v158, v158, v6                               // 000000008494: 0B3C0D9E
	v_mul_f32_e32 v159, v159, v7                               // 000000008498: 0B3E0F9F
	v_mul_f32_e32 v156, v156, v236                             // 00000000849C: 0B39D99C
	v_mul_f32_e32 v157, v157, v237                             // 0000000084A0: 0B3BDB9D
	v_mul_f32_e32 v158, v158, v238                             // 0000000084A4: 0B3DDD9E
	v_mul_f32_e32 v159, v159, v239                             // 0000000084A8: 0B3FDF9F
	v_mul_f32_e64 v4, -v160, s6                                // 0000000084AC: D1050004 20000DA0
	v_mul_f32_e64 v5, -v161, s6                                // 0000000084B4: D1050005 20000DA1
	v_mul_f32_e64 v6, -v162, s6                                // 0000000084BC: D1050006 20000DA2
	v_mul_f32_e64 v7, -v163, s6                                // 0000000084C4: D1050007 20000DA3
	v_exp_f32_e32 v4, v4                                       // 0000000084CC: 7E084104
	v_exp_f32_e32 v5, v5                                       // 0000000084D0: 7E0A4105
	v_exp_f32_e32 v6, v6                                       // 0000000084D4: 7E0C4106
	v_exp_f32_e32 v7, v7                                       // 0000000084D8: 7E0E4107
	v_add_f32_e64 v4, v4, 1.0                                  // 0000000084DC: D1010004 0001E504
	v_add_f32_e64 v5, v5, 1.0                                  // 0000000084E4: D1010005 0001E505
	v_add_f32_e64 v6, v6, 1.0                                  // 0000000084EC: D1010006 0001E506
	v_add_f32_e64 v7, v7, 1.0                                  // 0000000084F4: D1010007 0001E507
	v_rcp_f32_e32 v4, v4                                       // 0000000084FC: 7E084504
	v_rcp_f32_e32 v5, v5                                       // 000000008500: 7E0A4505
	v_rcp_f32_e32 v6, v6                                       // 000000008504: 7E0C4506
	v_rcp_f32_e32 v7, v7                                       // 000000008508: 7E0E4507
	v_mul_f32_e32 v160, v160, v4                               // 00000000850C: 0B4009A0
	v_mul_f32_e32 v161, v161, v5                               // 000000008510: 0B420BA1
	v_mul_f32_e32 v162, v162, v6                               // 000000008514: 0B440DA2
	v_mul_f32_e32 v163, v163, v7                               // 000000008518: 0B460FA3
	v_mul_f32_e32 v160, v160, v240                             // 00000000851C: 0B41E1A0
	v_mul_f32_e32 v161, v161, v241                             // 000000008520: 0B43E3A1
	v_mul_f32_e32 v162, v162, v242                             // 000000008524: 0B45E5A2
	v_mul_f32_e32 v163, v163, v243                             // 000000008528: 0B47E7A3
	v_mul_f32_e64 v4, -v164, s6                                // 00000000852C: D1050004 20000DA4
	v_mul_f32_e64 v5, -v165, s6                                // 000000008534: D1050005 20000DA5
	v_mul_f32_e64 v6, -v166, s6                                // 00000000853C: D1050006 20000DA6
	v_mul_f32_e64 v7, -v167, s6                                // 000000008544: D1050007 20000DA7
	v_exp_f32_e32 v4, v4                                       // 00000000854C: 7E084104
	v_exp_f32_e32 v5, v5                                       // 000000008550: 7E0A4105
	v_exp_f32_e32 v6, v6                                       // 000000008554: 7E0C4106
	v_exp_f32_e32 v7, v7                                       // 000000008558: 7E0E4107
	v_add_f32_e64 v4, v4, 1.0                                  // 00000000855C: D1010004 0001E504
	v_add_f32_e64 v5, v5, 1.0                                  // 000000008564: D1010005 0001E505
	v_add_f32_e64 v6, v6, 1.0                                  // 00000000856C: D1010006 0001E506
	v_add_f32_e64 v7, v7, 1.0                                  // 000000008574: D1010007 0001E507
	v_rcp_f32_e32 v4, v4                                       // 00000000857C: 7E084504
	v_rcp_f32_e32 v5, v5                                       // 000000008580: 7E0A4505
	v_rcp_f32_e32 v6, v6                                       // 000000008584: 7E0C4506
	v_rcp_f32_e32 v7, v7                                       // 000000008588: 7E0E4507
	v_mul_f32_e32 v164, v164, v4                               // 00000000858C: 0B4809A4
	v_mul_f32_e32 v165, v165, v5                               // 000000008590: 0B4A0BA5
	v_mul_f32_e32 v166, v166, v6                               // 000000008594: 0B4C0DA6
	v_mul_f32_e32 v167, v167, v7                               // 000000008598: 0B4E0FA7
	v_mul_f32_e32 v164, v164, v244                             // 00000000859C: 0B49E9A4
	v_mul_f32_e32 v165, v165, v245                             // 0000000085A0: 0B4BEBA5
	v_mul_f32_e32 v166, v166, v246                             // 0000000085A4: 0B4DEDA6
	v_mul_f32_e32 v167, v167, v247                             // 0000000085A8: 0B4FEFA7
	v_mul_f32_e64 v4, -v168, s6                                // 0000000085AC: D1050004 20000DA8
	v_mul_f32_e64 v5, -v169, s6                                // 0000000085B4: D1050005 20000DA9
	v_mul_f32_e64 v6, -v170, s6                                // 0000000085BC: D1050006 20000DAA
	v_mul_f32_e64 v7, -v171, s6                                // 0000000085C4: D1050007 20000DAB
	v_exp_f32_e32 v4, v4                                       // 0000000085CC: 7E084104
	v_exp_f32_e32 v5, v5                                       // 0000000085D0: 7E0A4105
	v_exp_f32_e32 v6, v6                                       // 0000000085D4: 7E0C4106
	v_exp_f32_e32 v7, v7                                       // 0000000085D8: 7E0E4107
	v_add_f32_e64 v4, v4, 1.0                                  // 0000000085DC: D1010004 0001E504
	v_add_f32_e64 v5, v5, 1.0                                  // 0000000085E4: D1010005 0001E505
	v_add_f32_e64 v6, v6, 1.0                                  // 0000000085EC: D1010006 0001E506
	v_add_f32_e64 v7, v7, 1.0                                  // 0000000085F4: D1010007 0001E507
	v_rcp_f32_e32 v4, v4                                       // 0000000085FC: 7E084504
	v_rcp_f32_e32 v5, v5                                       // 000000008600: 7E0A4505
	v_rcp_f32_e32 v6, v6                                       // 000000008604: 7E0C4506
	v_rcp_f32_e32 v7, v7                                       // 000000008608: 7E0E4507
	v_mul_f32_e32 v168, v168, v4                               // 00000000860C: 0B5009A8
	v_mul_f32_e32 v169, v169, v5                               // 000000008610: 0B520BA9
	v_mul_f32_e32 v170, v170, v6                               // 000000008614: 0B540DAA
	v_mul_f32_e32 v171, v171, v7                               // 000000008618: 0B560FAB
	v_mul_f32_e32 v168, v168, v248                             // 00000000861C: 0B51F1A8
	v_mul_f32_e32 v169, v169, v249                             // 000000008620: 0B53F3A9
	v_mul_f32_e32 v170, v170, v250                             // 000000008624: 0B55F5AA
	v_mul_f32_e32 v171, v171, v251                             // 000000008628: 0B57F7AB

000000000000862c <label_170B>:
	v_cmp_u_f32_e64 s[46:47], v92, v92                         // 00000000862C: D048002E 0002B95C
	v_add3_u32 v16, v92, v19, 1                                // 000000008634: D1FF0010 0206275C
	v_cndmask_b32_e64 v4, v16, v18, s[46:47]                   // 00000000863C: D1000004 00BA2510
	v_cmp_u_f32_e64 s[46:47], v93, v93                         // 000000008644: D048002E 0002BB5D
	v_add3_u32 v16, v93, v19, 1                                // 00000000864C: D1FF0010 0206275D
	v_cndmask_b32_e64 v5, v16, v18, s[46:47]                   // 000000008654: D1000005 00BA2510
	v_perm_b32 v92, v5, v4, s52                                // 00000000865C: D1ED005C 00D20905
	v_cmp_u_f32_e64 s[46:47], v94, v94                         // 000000008664: D048002E 0002BD5E
	v_add3_u32 v16, v94, v19, 1                                // 00000000866C: D1FF0010 0206275E
	v_cndmask_b32_e64 v4, v16, v18, s[46:47]                   // 000000008674: D1000004 00BA2510
	v_cmp_u_f32_e64 s[46:47], v95, v95                         // 00000000867C: D048002E 0002BF5F
	v_add3_u32 v16, v95, v19, 1                                // 000000008684: D1FF0010 0206275F
	v_cndmask_b32_e64 v5, v16, v18, s[46:47]                   // 00000000868C: D1000005 00BA2510
	v_perm_b32 v93, v5, v4, s52                                // 000000008694: D1ED005D 00D20905
	v_cmp_u_f32_e64 s[46:47], v96, v96                         // 00000000869C: D048002E 0002C160
	v_add3_u32 v16, v96, v19, 1                                // 0000000086A4: D1FF0010 02062760
	v_cndmask_b32_e64 v4, v16, v18, s[46:47]                   // 0000000086AC: D1000004 00BA2510
	v_cmp_u_f32_e64 s[46:47], v97, v97                         // 0000000086B4: D048002E 0002C361
	v_add3_u32 v16, v97, v19, 1                                // 0000000086BC: D1FF0010 02062761
	v_cndmask_b32_e64 v5, v16, v18, s[46:47]                   // 0000000086C4: D1000005 00BA2510
	v_perm_b32 v94, v5, v4, s52                                // 0000000086CC: D1ED005E 00D20905
	v_cmp_u_f32_e64 s[46:47], v98, v98                         // 0000000086D4: D048002E 0002C562
	v_add3_u32 v16, v98, v19, 1                                // 0000000086DC: D1FF0010 02062762
	v_cndmask_b32_e64 v4, v16, v18, s[46:47]                   // 0000000086E4: D1000004 00BA2510
	v_cmp_u_f32_e64 s[46:47], v99, v99                         // 0000000086EC: D048002E 0002C763
	v_add3_u32 v16, v99, v19, 1                                // 0000000086F4: D1FF0010 02062763
	v_cndmask_b32_e64 v5, v16, v18, s[46:47]                   // 0000000086FC: D1000005 00BA2510
	v_perm_b32 v95, v5, v4, s52                                // 000000008704: D1ED005F 00D20905
	v_cmp_u_f32_e64 s[46:47], v100, v100                       // 00000000870C: D048002E 0002C964
	v_add3_u32 v16, v100, v19, 1                               // 000000008714: D1FF0010 02062764
	v_cndmask_b32_e64 v4, v16, v18, s[46:47]                   // 00000000871C: D1000004 00BA2510
	v_cmp_u_f32_e64 s[46:47], v101, v101                       // 000000008724: D048002E 0002CB65
	v_add3_u32 v16, v101, v19, 1                               // 00000000872C: D1FF0010 02062765
	v_cndmask_b32_e64 v5, v16, v18, s[46:47]                   // 000000008734: D1000005 00BA2510
	v_perm_b32 v96, v5, v4, s52                                // 00000000873C: D1ED0060 00D20905
	v_cmp_u_f32_e64 s[46:47], v102, v102                       // 000000008744: D048002E 0002CD66
	v_add3_u32 v16, v102, v19, 1                               // 00000000874C: D1FF0010 02062766
	v_cndmask_b32_e64 v4, v16, v18, s[46:47]                   // 000000008754: D1000004 00BA2510
	v_cmp_u_f32_e64 s[46:47], v103, v103                       // 00000000875C: D048002E 0002CF67
	v_add3_u32 v16, v103, v19, 1                               // 000000008764: D1FF0010 02062767
	v_cndmask_b32_e64 v5, v16, v18, s[46:47]                   // 00000000876C: D1000005 00BA2510
	v_perm_b32 v97, v5, v4, s52                                // 000000008774: D1ED0061 00D20905
	v_cmp_u_f32_e64 s[46:47], v104, v104                       // 00000000877C: D048002E 0002D168
	v_add3_u32 v16, v104, v19, 1                               // 000000008784: D1FF0010 02062768
	v_cndmask_b32_e64 v4, v16, v18, s[46:47]                   // 00000000878C: D1000004 00BA2510
	v_cmp_u_f32_e64 s[46:47], v105, v105                       // 000000008794: D048002E 0002D369
	v_add3_u32 v16, v105, v19, 1                               // 00000000879C: D1FF0010 02062769
	v_cndmask_b32_e64 v5, v16, v18, s[46:47]                   // 0000000087A4: D1000005 00BA2510
	v_perm_b32 v98, v5, v4, s52                                // 0000000087AC: D1ED0062 00D20905
	v_cmp_u_f32_e64 s[46:47], v106, v106                       // 0000000087B4: D048002E 0002D56A
	v_add3_u32 v16, v106, v19, 1                               // 0000000087BC: D1FF0010 0206276A
	v_cndmask_b32_e64 v4, v16, v18, s[46:47]                   // 0000000087C4: D1000004 00BA2510
	v_cmp_u_f32_e64 s[46:47], v107, v107                       // 0000000087CC: D048002E 0002D76B
	v_add3_u32 v16, v107, v19, 1                               // 0000000087D4: D1FF0010 0206276B
	v_cndmask_b32_e64 v5, v16, v18, s[46:47]                   // 0000000087DC: D1000005 00BA2510
	v_perm_b32 v99, v5, v4, s52                                // 0000000087E4: D1ED0063 00D20905
	v_cmp_u_f32_e64 s[46:47], v108, v108                       // 0000000087EC: D048002E 0002D96C
	v_add3_u32 v16, v108, v19, 1                               // 0000000087F4: D1FF0010 0206276C
	v_cndmask_b32_e64 v4, v16, v18, s[46:47]                   // 0000000087FC: D1000004 00BA2510
	v_cmp_u_f32_e64 s[46:47], v109, v109                       // 000000008804: D048002E 0002DB6D
	v_add3_u32 v16, v109, v19, 1                               // 00000000880C: D1FF0010 0206276D
	v_cndmask_b32_e64 v5, v16, v18, s[46:47]                   // 000000008814: D1000005 00BA2510
	v_perm_b32 v100, v5, v4, s52                               // 00000000881C: D1ED0064 00D20905
	v_cmp_u_f32_e64 s[46:47], v110, v110                       // 000000008824: D048002E 0002DD6E
	v_add3_u32 v16, v110, v19, 1                               // 00000000882C: D1FF0010 0206276E
	v_cndmask_b32_e64 v4, v16, v18, s[46:47]                   // 000000008834: D1000004 00BA2510
	v_cmp_u_f32_e64 s[46:47], v111, v111                       // 00000000883C: D048002E 0002DF6F
	v_add3_u32 v16, v111, v19, 1                               // 000000008844: D1FF0010 0206276F
	v_cndmask_b32_e64 v5, v16, v18, s[46:47]                   // 00000000884C: D1000005 00BA2510
	v_perm_b32 v101, v5, v4, s52                               // 000000008854: D1ED0065 00D20905
	v_cmp_u_f32_e64 s[46:47], v112, v112                       // 00000000885C: D048002E 0002E170
	v_add3_u32 v16, v112, v19, 1                               // 000000008864: D1FF0010 02062770
	v_cndmask_b32_e64 v4, v16, v18, s[46:47]                   // 00000000886C: D1000004 00BA2510
	v_cmp_u_f32_e64 s[46:47], v113, v113                       // 000000008874: D048002E 0002E371
	v_add3_u32 v16, v113, v19, 1                               // 00000000887C: D1FF0010 02062771
	v_cndmask_b32_e64 v5, v16, v18, s[46:47]                   // 000000008884: D1000005 00BA2510
	v_perm_b32 v102, v5, v4, s52                               // 00000000888C: D1ED0066 00D20905
	v_cmp_u_f32_e64 s[46:47], v114, v114                       // 000000008894: D048002E 0002E572
	v_add3_u32 v16, v114, v19, 1                               // 00000000889C: D1FF0010 02062772
	v_cndmask_b32_e64 v4, v16, v18, s[46:47]                   // 0000000088A4: D1000004 00BA2510
	v_cmp_u_f32_e64 s[46:47], v115, v115                       // 0000000088AC: D048002E 0002E773
	v_add3_u32 v16, v115, v19, 1                               // 0000000088B4: D1FF0010 02062773
	v_cndmask_b32_e64 v5, v16, v18, s[46:47]                   // 0000000088BC: D1000005 00BA2510
	v_perm_b32 v103, v5, v4, s52                               // 0000000088C4: D1ED0067 00D20905
	v_cmp_u_f32_e64 s[46:47], v116, v116                       // 0000000088CC: D048002E 0002E974
	v_add3_u32 v16, v116, v19, 1                               // 0000000088D4: D1FF0010 02062774
	v_cndmask_b32_e64 v4, v16, v18, s[46:47]                   // 0000000088DC: D1000004 00BA2510
	v_cmp_u_f32_e64 s[46:47], v117, v117                       // 0000000088E4: D048002E 0002EB75
	v_add3_u32 v16, v117, v19, 1                               // 0000000088EC: D1FF0010 02062775
	v_cndmask_b32_e64 v5, v16, v18, s[46:47]                   // 0000000088F4: D1000005 00BA2510
	v_perm_b32 v104, v5, v4, s52                               // 0000000088FC: D1ED0068 00D20905
	v_cmp_u_f32_e64 s[46:47], v118, v118                       // 000000008904: D048002E 0002ED76
	v_add3_u32 v16, v118, v19, 1                               // 00000000890C: D1FF0010 02062776
	v_cndmask_b32_e64 v4, v16, v18, s[46:47]                   // 000000008914: D1000004 00BA2510
	v_cmp_u_f32_e64 s[46:47], v119, v119                       // 00000000891C: D048002E 0002EF77
	v_add3_u32 v16, v119, v19, 1                               // 000000008924: D1FF0010 02062777
	v_cndmask_b32_e64 v5, v16, v18, s[46:47]                   // 00000000892C: D1000005 00BA2510
	v_perm_b32 v105, v5, v4, s52                               // 000000008934: D1ED0069 00D20905
	v_cmp_u_f32_e64 s[46:47], v120, v120                       // 00000000893C: D048002E 0002F178
	v_add3_u32 v16, v120, v19, 1                               // 000000008944: D1FF0010 02062778
	v_cndmask_b32_e64 v4, v16, v18, s[46:47]                   // 00000000894C: D1000004 00BA2510
	v_cmp_u_f32_e64 s[46:47], v121, v121                       // 000000008954: D048002E 0002F379
	v_add3_u32 v16, v121, v19, 1                               // 00000000895C: D1FF0010 02062779
	v_cndmask_b32_e64 v5, v16, v18, s[46:47]                   // 000000008964: D1000005 00BA2510
	v_perm_b32 v106, v5, v4, s52                               // 00000000896C: D1ED006A 00D20905
	v_cmp_u_f32_e64 s[46:47], v122, v122                       // 000000008974: D048002E 0002F57A
	v_add3_u32 v16, v122, v19, 1                               // 00000000897C: D1FF0010 0206277A
	v_cndmask_b32_e64 v4, v16, v18, s[46:47]                   // 000000008984: D1000004 00BA2510
	v_cmp_u_f32_e64 s[46:47], v123, v123                       // 00000000898C: D048002E 0002F77B
	v_add3_u32 v16, v123, v19, 1                               // 000000008994: D1FF0010 0206277B
	v_cndmask_b32_e64 v5, v16, v18, s[46:47]                   // 00000000899C: D1000005 00BA2510
	v_perm_b32 v107, v5, v4, s52                               // 0000000089A4: D1ED006B 00D20905
	v_cmp_u_f32_e64 s[46:47], v124, v124                       // 0000000089AC: D048002E 0002F97C
	v_add3_u32 v16, v124, v19, 1                               // 0000000089B4: D1FF0010 0206277C
	v_cndmask_b32_e64 v4, v16, v18, s[46:47]                   // 0000000089BC: D1000004 00BA2510
	v_cmp_u_f32_e64 s[46:47], v125, v125                       // 0000000089C4: D048002E 0002FB7D
	v_add3_u32 v16, v125, v19, 1                               // 0000000089CC: D1FF0010 0206277D
	v_cndmask_b32_e64 v5, v16, v18, s[46:47]                   // 0000000089D4: D1000005 00BA2510
	v_perm_b32 v108, v5, v4, s52                               // 0000000089DC: D1ED006C 00D20905
	v_cmp_u_f32_e64 s[46:47], v126, v126                       // 0000000089E4: D048002E 0002FD7E
	v_add3_u32 v16, v126, v19, 1                               // 0000000089EC: D1FF0010 0206277E
	v_cndmask_b32_e64 v4, v16, v18, s[46:47]                   // 0000000089F4: D1000004 00BA2510
	v_cmp_u_f32_e64 s[46:47], v127, v127                       // 0000000089FC: D048002E 0002FF7F
	v_add3_u32 v16, v127, v19, 1                               // 000000008A04: D1FF0010 0206277F
	v_cndmask_b32_e64 v5, v16, v18, s[46:47]                   // 000000008A0C: D1000005 00BA2510
	v_perm_b32 v109, v5, v4, s52                               // 000000008A14: D1ED006D 00D20905
	v_cmp_u_f32_e64 s[46:47], v128, v128                       // 000000008A1C: D048002E 00030180
	v_add3_u32 v16, v128, v19, 1                               // 000000008A24: D1FF0010 02062780
	v_cndmask_b32_e64 v4, v16, v18, s[46:47]                   // 000000008A2C: D1000004 00BA2510
	v_cmp_u_f32_e64 s[46:47], v129, v129                       // 000000008A34: D048002E 00030381
	v_add3_u32 v16, v129, v19, 1                               // 000000008A3C: D1FF0010 02062781
	v_cndmask_b32_e64 v5, v16, v18, s[46:47]                   // 000000008A44: D1000005 00BA2510
	v_perm_b32 v110, v5, v4, s52                               // 000000008A4C: D1ED006E 00D20905
	v_cmp_u_f32_e64 s[46:47], v130, v130                       // 000000008A54: D048002E 00030582
	v_add3_u32 v16, v130, v19, 1                               // 000000008A5C: D1FF0010 02062782
	v_cndmask_b32_e64 v4, v16, v18, s[46:47]                   // 000000008A64: D1000004 00BA2510
	v_cmp_u_f32_e64 s[46:47], v131, v131                       // 000000008A6C: D048002E 00030783
	v_add3_u32 v16, v131, v19, 1                               // 000000008A74: D1FF0010 02062783
	v_cndmask_b32_e64 v5, v16, v18, s[46:47]                   // 000000008A7C: D1000005 00BA2510
	v_perm_b32 v111, v5, v4, s52                               // 000000008A84: D1ED006F 00D20905
	v_cmp_u_f32_e64 s[46:47], v132, v132                       // 000000008A8C: D048002E 00030984
	v_add3_u32 v16, v132, v19, 1                               // 000000008A94: D1FF0010 02062784
	v_cndmask_b32_e64 v4, v16, v18, s[46:47]                   // 000000008A9C: D1000004 00BA2510
	v_cmp_u_f32_e64 s[46:47], v133, v133                       // 000000008AA4: D048002E 00030B85
	v_add3_u32 v16, v133, v19, 1                               // 000000008AAC: D1FF0010 02062785
	v_cndmask_b32_e64 v5, v16, v18, s[46:47]                   // 000000008AB4: D1000005 00BA2510
	v_perm_b32 v112, v5, v4, s52                               // 000000008ABC: D1ED0070 00D20905
	v_cmp_u_f32_e64 s[46:47], v134, v134                       // 000000008AC4: D048002E 00030D86
	v_add3_u32 v16, v134, v19, 1                               // 000000008ACC: D1FF0010 02062786
	v_cndmask_b32_e64 v4, v16, v18, s[46:47]                   // 000000008AD4: D1000004 00BA2510
	v_cmp_u_f32_e64 s[46:47], v135, v135                       // 000000008ADC: D048002E 00030F87
	v_add3_u32 v16, v135, v19, 1                               // 000000008AE4: D1FF0010 02062787
	v_cndmask_b32_e64 v5, v16, v18, s[46:47]                   // 000000008AEC: D1000005 00BA2510
	v_perm_b32 v113, v5, v4, s52                               // 000000008AF4: D1ED0071 00D20905
	v_cmp_u_f32_e64 s[46:47], v136, v136                       // 000000008AFC: D048002E 00031188
	v_add3_u32 v16, v136, v19, 1                               // 000000008B04: D1FF0010 02062788
	v_cndmask_b32_e64 v4, v16, v18, s[46:47]                   // 000000008B0C: D1000004 00BA2510
	v_cmp_u_f32_e64 s[46:47], v137, v137                       // 000000008B14: D048002E 00031389
	v_add3_u32 v16, v137, v19, 1                               // 000000008B1C: D1FF0010 02062789
	v_cndmask_b32_e64 v5, v16, v18, s[46:47]                   // 000000008B24: D1000005 00BA2510
	v_perm_b32 v114, v5, v4, s52                               // 000000008B2C: D1ED0072 00D20905
	v_cmp_u_f32_e64 s[46:47], v138, v138                       // 000000008B34: D048002E 0003158A
	v_add3_u32 v16, v138, v19, 1                               // 000000008B3C: D1FF0010 0206278A
	v_cndmask_b32_e64 v4, v16, v18, s[46:47]                   // 000000008B44: D1000004 00BA2510
	v_cmp_u_f32_e64 s[46:47], v139, v139                       // 000000008B4C: D048002E 0003178B
	v_add3_u32 v16, v139, v19, 1                               // 000000008B54: D1FF0010 0206278B
	v_cndmask_b32_e64 v5, v16, v18, s[46:47]                   // 000000008B5C: D1000005 00BA2510
	v_perm_b32 v115, v5, v4, s52                               // 000000008B64: D1ED0073 00D20905
	v_cmp_u_f32_e64 s[46:47], v140, v140                       // 000000008B6C: D048002E 0003198C
	v_add3_u32 v16, v140, v19, 1                               // 000000008B74: D1FF0010 0206278C
	v_cndmask_b32_e64 v4, v16, v18, s[46:47]                   // 000000008B7C: D1000004 00BA2510
	v_cmp_u_f32_e64 s[46:47], v141, v141                       // 000000008B84: D048002E 00031B8D
	v_add3_u32 v16, v141, v19, 1                               // 000000008B8C: D1FF0010 0206278D
	v_cndmask_b32_e64 v5, v16, v18, s[46:47]                   // 000000008B94: D1000005 00BA2510
	v_perm_b32 v116, v5, v4, s52                               // 000000008B9C: D1ED0074 00D20905
	v_cmp_u_f32_e64 s[46:47], v142, v142                       // 000000008BA4: D048002E 00031D8E
	v_add3_u32 v16, v142, v19, 1                               // 000000008BAC: D1FF0010 0206278E
	v_cndmask_b32_e64 v4, v16, v18, s[46:47]                   // 000000008BB4: D1000004 00BA2510
	v_cmp_u_f32_e64 s[46:47], v143, v143                       // 000000008BBC: D048002E 00031F8F
	v_add3_u32 v16, v143, v19, 1                               // 000000008BC4: D1FF0010 0206278F
	v_cndmask_b32_e64 v5, v16, v18, s[46:47]                   // 000000008BCC: D1000005 00BA2510
	v_perm_b32 v117, v5, v4, s52                               // 000000008BD4: D1ED0075 00D20905
	v_cmp_u_f32_e64 s[46:47], v144, v144                       // 000000008BDC: D048002E 00032190
	v_add3_u32 v16, v144, v19, 1                               // 000000008BE4: D1FF0010 02062790
	v_cndmask_b32_e64 v4, v16, v18, s[46:47]                   // 000000008BEC: D1000004 00BA2510
	v_cmp_u_f32_e64 s[46:47], v145, v145                       // 000000008BF4: D048002E 00032391
	v_add3_u32 v16, v145, v19, 1                               // 000000008BFC: D1FF0010 02062791
	v_cndmask_b32_e64 v5, v16, v18, s[46:47]                   // 000000008C04: D1000005 00BA2510
	v_perm_b32 v118, v5, v4, s52                               // 000000008C0C: D1ED0076 00D20905
	v_cmp_u_f32_e64 s[46:47], v146, v146                       // 000000008C14: D048002E 00032592
	v_add3_u32 v16, v146, v19, 1                               // 000000008C1C: D1FF0010 02062792
	v_cndmask_b32_e64 v4, v16, v18, s[46:47]                   // 000000008C24: D1000004 00BA2510
	v_cmp_u_f32_e64 s[46:47], v147, v147                       // 000000008C2C: D048002E 00032793
	v_add3_u32 v16, v147, v19, 1                               // 000000008C34: D1FF0010 02062793
	v_cndmask_b32_e64 v5, v16, v18, s[46:47]                   // 000000008C3C: D1000005 00BA2510
	v_perm_b32 v119, v5, v4, s52                               // 000000008C44: D1ED0077 00D20905
	v_cmp_u_f32_e64 s[46:47], v148, v148                       // 000000008C4C: D048002E 00032994
	v_add3_u32 v16, v148, v19, 1                               // 000000008C54: D1FF0010 02062794
	v_cndmask_b32_e64 v4, v16, v18, s[46:47]                   // 000000008C5C: D1000004 00BA2510
	v_cmp_u_f32_e64 s[46:47], v149, v149                       // 000000008C64: D048002E 00032B95
	v_add3_u32 v16, v149, v19, 1                               // 000000008C6C: D1FF0010 02062795
	v_cndmask_b32_e64 v5, v16, v18, s[46:47]                   // 000000008C74: D1000005 00BA2510
	v_perm_b32 v120, v5, v4, s52                               // 000000008C7C: D1ED0078 00D20905
	v_cmp_u_f32_e64 s[46:47], v150, v150                       // 000000008C84: D048002E 00032D96
	v_add3_u32 v16, v150, v19, 1                               // 000000008C8C: D1FF0010 02062796
	v_cndmask_b32_e64 v4, v16, v18, s[46:47]                   // 000000008C94: D1000004 00BA2510
	v_cmp_u_f32_e64 s[46:47], v151, v151                       // 000000008C9C: D048002E 00032F97
	v_add3_u32 v16, v151, v19, 1                               // 000000008CA4: D1FF0010 02062797
	v_cndmask_b32_e64 v5, v16, v18, s[46:47]                   // 000000008CAC: D1000005 00BA2510
	v_perm_b32 v121, v5, v4, s52                               // 000000008CB4: D1ED0079 00D20905
	v_cmp_u_f32_e64 s[46:47], v152, v152                       // 000000008CBC: D048002E 00033198
	v_add3_u32 v16, v152, v19, 1                               // 000000008CC4: D1FF0010 02062798
	v_cndmask_b32_e64 v4, v16, v18, s[46:47]                   // 000000008CCC: D1000004 00BA2510
	v_cmp_u_f32_e64 s[46:47], v153, v153                       // 000000008CD4: D048002E 00033399
	v_add3_u32 v16, v153, v19, 1                               // 000000008CDC: D1FF0010 02062799
	v_cndmask_b32_e64 v5, v16, v18, s[46:47]                   // 000000008CE4: D1000005 00BA2510
	v_perm_b32 v122, v5, v4, s52                               // 000000008CEC: D1ED007A 00D20905
	v_cmp_u_f32_e64 s[46:47], v154, v154                       // 000000008CF4: D048002E 0003359A
	v_add3_u32 v16, v154, v19, 1                               // 000000008CFC: D1FF0010 0206279A
	v_cndmask_b32_e64 v4, v16, v18, s[46:47]                   // 000000008D04: D1000004 00BA2510
	v_cmp_u_f32_e64 s[46:47], v155, v155                       // 000000008D0C: D048002E 0003379B
	v_add3_u32 v16, v155, v19, 1                               // 000000008D14: D1FF0010 0206279B
	v_cndmask_b32_e64 v5, v16, v18, s[46:47]                   // 000000008D1C: D1000005 00BA2510
	v_perm_b32 v123, v5, v4, s52                               // 000000008D24: D1ED007B 00D20905
	v_cmp_u_f32_e64 s[46:47], v156, v156                       // 000000008D2C: D048002E 0003399C
	v_add3_u32 v16, v156, v19, 1                               // 000000008D34: D1FF0010 0206279C
	v_cndmask_b32_e64 v4, v16, v18, s[46:47]                   // 000000008D3C: D1000004 00BA2510
	v_cmp_u_f32_e64 s[46:47], v157, v157                       // 000000008D44: D048002E 00033B9D
	v_add3_u32 v16, v157, v19, 1                               // 000000008D4C: D1FF0010 0206279D
	v_cndmask_b32_e64 v5, v16, v18, s[46:47]                   // 000000008D54: D1000005 00BA2510
	v_perm_b32 v124, v5, v4, s52                               // 000000008D5C: D1ED007C 00D20905
	v_cmp_u_f32_e64 s[46:47], v158, v158                       // 000000008D64: D048002E 00033D9E
	v_add3_u32 v16, v158, v19, 1                               // 000000008D6C: D1FF0010 0206279E
	v_cndmask_b32_e64 v4, v16, v18, s[46:47]                   // 000000008D74: D1000004 00BA2510
	v_cmp_u_f32_e64 s[46:47], v159, v159                       // 000000008D7C: D048002E 00033F9F
	v_add3_u32 v16, v159, v19, 1                               // 000000008D84: D1FF0010 0206279F
	v_cndmask_b32_e64 v5, v16, v18, s[46:47]                   // 000000008D8C: D1000005 00BA2510
	v_perm_b32 v125, v5, v4, s52                               // 000000008D94: D1ED007D 00D20905
	v_cmp_u_f32_e64 s[46:47], v160, v160                       // 000000008D9C: D048002E 000341A0
	v_add3_u32 v16, v160, v19, 1                               // 000000008DA4: D1FF0010 020627A0
	v_cndmask_b32_e64 v4, v16, v18, s[46:47]                   // 000000008DAC: D1000004 00BA2510
	v_cmp_u_f32_e64 s[46:47], v161, v161                       // 000000008DB4: D048002E 000343A1
	v_add3_u32 v16, v161, v19, 1                               // 000000008DBC: D1FF0010 020627A1
	v_cndmask_b32_e64 v5, v16, v18, s[46:47]                   // 000000008DC4: D1000005 00BA2510
	v_perm_b32 v126, v5, v4, s52                               // 000000008DCC: D1ED007E 00D20905
	v_cmp_u_f32_e64 s[46:47], v162, v162                       // 000000008DD4: D048002E 000345A2
	v_add3_u32 v16, v162, v19, 1                               // 000000008DDC: D1FF0010 020627A2
	v_cndmask_b32_e64 v4, v16, v18, s[46:47]                   // 000000008DE4: D1000004 00BA2510
	v_cmp_u_f32_e64 s[46:47], v163, v163                       // 000000008DEC: D048002E 000347A3
	v_add3_u32 v16, v163, v19, 1                               // 000000008DF4: D1FF0010 020627A3
	v_cndmask_b32_e64 v5, v16, v18, s[46:47]                   // 000000008DFC: D1000005 00BA2510
	v_perm_b32 v127, v5, v4, s52                               // 000000008E04: D1ED007F 00D20905
	v_cmp_u_f32_e64 s[46:47], v164, v164                       // 000000008E0C: D048002E 000349A4
	v_add3_u32 v16, v164, v19, 1                               // 000000008E14: D1FF0010 020627A4
	v_cndmask_b32_e64 v4, v16, v18, s[46:47]                   // 000000008E1C: D1000004 00BA2510
	v_cmp_u_f32_e64 s[46:47], v165, v165                       // 000000008E24: D048002E 00034BA5
	v_add3_u32 v16, v165, v19, 1                               // 000000008E2C: D1FF0010 020627A5
	v_cndmask_b32_e64 v5, v16, v18, s[46:47]                   // 000000008E34: D1000005 00BA2510
	v_perm_b32 v128, v5, v4, s52                               // 000000008E3C: D1ED0080 00D20905
	v_cmp_u_f32_e64 s[46:47], v166, v166                       // 000000008E44: D048002E 00034DA6
	v_add3_u32 v16, v166, v19, 1                               // 000000008E4C: D1FF0010 020627A6
	v_cndmask_b32_e64 v4, v16, v18, s[46:47]                   // 000000008E54: D1000004 00BA2510
	v_cmp_u_f32_e64 s[46:47], v167, v167                       // 000000008E5C: D048002E 00034FA7
	v_add3_u32 v16, v167, v19, 1                               // 000000008E64: D1FF0010 020627A7
	v_cndmask_b32_e64 v5, v16, v18, s[46:47]                   // 000000008E6C: D1000005 00BA2510
	v_perm_b32 v129, v5, v4, s52                               // 000000008E74: D1ED0081 00D20905
	v_cmp_u_f32_e64 s[46:47], v168, v168                       // 000000008E7C: D048002E 000351A8
	v_add3_u32 v16, v168, v19, 1                               // 000000008E84: D1FF0010 020627A8
	v_cndmask_b32_e64 v4, v16, v18, s[46:47]                   // 000000008E8C: D1000004 00BA2510
	v_cmp_u_f32_e64 s[46:47], v169, v169                       // 000000008E94: D048002E 000353A9
	v_add3_u32 v16, v169, v19, 1                               // 000000008E9C: D1FF0010 020627A9
	v_cndmask_b32_e64 v5, v16, v18, s[46:47]                   // 000000008EA4: D1000005 00BA2510
	v_perm_b32 v130, v5, v4, s52                               // 000000008EAC: D1ED0082 00D20905
	v_cmp_u_f32_e64 s[46:47], v170, v170                       // 000000008EB4: D048002E 000355AA
	v_add3_u32 v16, v170, v19, 1                               // 000000008EBC: D1FF0010 020627AA
	v_cndmask_b32_e64 v4, v16, v18, s[46:47]                   // 000000008EC4: D1000004 00BA2510
	v_cmp_u_f32_e64 s[46:47], v171, v171                       // 000000008ECC: D048002E 000357AB
	v_add3_u32 v16, v171, v19, 1                               // 000000008ED4: D1FF0010 020627AB
	v_cndmask_b32_e64 v5, v16, v18, s[46:47]                   // 000000008EDC: D1000005 00BA2510
	v_perm_b32 v131, v5, v4, s52                               // 000000008EE4: D1ED0083 00D20905
	ds_write_b64 v20, v[92:93]                                 // 000000008EEC: D89A0000 00005C14
	ds_write_b64 v20, v[94:95] offset:4352                     // 000000008EF4: D89A1100 00005E14
	ds_write_b64 v20, v[96:97] offset:8704                     // 000000008EFC: D89A2200 00006014
	ds_write_b64 v20, v[98:99] offset:13056                    // 000000008F04: D89A3300 00006214
	ds_write_b64 v20, v[100:101] offset:17408                  // 000000008F0C: D89A4400 00006414
	ds_write_b64 v20, v[102:103] offset:21760                  // 000000008F14: D89A5500 00006614
	ds_write_b64 v20, v[104:105] offset:26112                  // 000000008F1C: D89A6600 00006814
	ds_write_b64 v20, v[106:107] offset:30464                  // 000000008F24: D89A7700 00006A14
	ds_write_b64 v20, v[108:109] offset:34816                  // 000000008F2C: D89A8800 00006C14
	ds_write_b64 v20, v[110:111] offset:39168                  // 000000008F34: D89A9900 00006E14
	ds_write_b64 v20, v[112:113] offset:2176                   // 000000008F3C: D89A0880 00007014
	ds_write_b64 v20, v[114:115] offset:6528                   // 000000008F44: D89A1980 00007214
	ds_write_b64 v20, v[116:117] offset:10880                  // 000000008F4C: D89A2A80 00007414
	ds_write_b64 v20, v[118:119] offset:15232                  // 000000008F54: D89A3B80 00007614
	ds_write_b64 v20, v[120:121] offset:19584                  // 000000008F5C: D89A4C80 00007814
	ds_write_b64 v20, v[122:123] offset:23936                  // 000000008F64: D89A5D80 00007A14
	ds_write_b64 v20, v[124:125] offset:28288                  // 000000008F6C: D89A6E80 00007C14
	ds_write_b64 v20, v[126:127] offset:32640                  // 000000008F74: D89A7F80 00007E14
	ds_write_b64 v20, v[128:129] offset:36992                  // 000000008F7C: D89A9080 00008014
	ds_write_b64 v20, v[130:131] offset:41344                  // 000000008F84: D89AA180 00008214
	v_lshrrev_b32_e32 v4, 5, v0                                // 000000008F8C: 20080085
	v_xor_b32_e32 v5, 1, v4                                    // 000000008F90: 2A0A0881
	s_mul_i32 s60, s65, 2                                      // 000000008F94: 923C8241
	s_cmp_eq_u32 s88, 0                                        // 000000008F98: BF068058
	s_cselect_b32 s61, 1, 4                                    // 000000008F9C: 853D8481
	s_mul_i32 s60, s61, s60                                    // 000000008FA0: 923C3C3D
	v_readlane_b32 s82, v3, 0                                  // 000000008FA4: D2890052 00010103
	s_lshr_b32 s61, s82, 24                                    // 000000008FAC: 8F3D9852
	s_and_b32 s82, s82, 0xffffff                               // 000000008FB0: 8652FF52 00FFFFFF
	s_mul_i32 s82, s82, s71                                    // 000000008FB8: 92524752
	s_mul_i32 s61, s60, s61                                    // 000000008FBC: 923D3D3C
	s_add_u32 s82, s82, s61                                    // 000000008FC0: 80523D52
	v_mul_lo_u32 v6, v5, s82                                   // 000000008FC4: D2850006 0000A505
	v_readlane_b32 s82, v3, 1                                  // 000000008FCC: D2890052 00010303
	s_lshr_b32 s61, s82, 24                                    // 000000008FD4: 8F3D9852
	s_and_b32 s82, s82, 0xffffff                               // 000000008FD8: 8652FF52 00FFFFFF
	s_mul_i32 s82, s82, s71                                    // 000000008FE0: 92524752
	s_mul_i32 s61, s60, s61                                    // 000000008FE4: 923D3D3C
	s_add_u32 s82, s82, s61                                    // 000000008FE8: 80523D52
	v_mul_lo_u32 v7, v4, s82                                   // 000000008FEC: D2850007 0000A504
	v_add_u32_e32 v70, v6, v7                                  // 000000008FF4: 688C0F06
	v_readlane_b32 s82, v3, 2                                  // 000000008FF8: D2890052 00010503
	s_lshr_b32 s61, s82, 24                                    // 000000009000: 8F3D9852
	s_and_b32 s82, s82, 0xffffff                               // 000000009004: 8652FF52 00FFFFFF
	s_mul_i32 s82, s82, s71                                    // 00000000900C: 92524752
	s_mul_i32 s61, s60, s61                                    // 000000009010: 923D3D3C
	s_add_u32 s82, s82, s61                                    // 000000009014: 80523D52
	v_mul_lo_u32 v6, v5, s82                                   // 000000009018: D2850006 0000A505
	v_readlane_b32 s82, v3, 3                                  // 000000009020: D2890052 00010703
	s_lshr_b32 s61, s82, 24                                    // 000000009028: 8F3D9852
	s_and_b32 s82, s82, 0xffffff                               // 00000000902C: 8652FF52 00FFFFFF
	s_mul_i32 s82, s82, s71                                    // 000000009034: 92524752
	s_mul_i32 s61, s60, s61                                    // 000000009038: 923D3D3C
	s_add_u32 s82, s82, s61                                    // 00000000903C: 80523D52
	v_mul_lo_u32 v7, v4, s82                                   // 000000009040: D2850007 0000A504
	v_add_u32_e32 v71, v6, v7                                  // 000000009048: 688E0F06
	v_readlane_b32 s82, v3, 4                                  // 00000000904C: D2890052 00010903
	s_lshr_b32 s61, s82, 24                                    // 000000009054: 8F3D9852
	s_and_b32 s82, s82, 0xffffff                               // 000000009058: 8652FF52 00FFFFFF
	s_mul_i32 s82, s82, s71                                    // 000000009060: 92524752
	s_mul_i32 s61, s60, s61                                    // 000000009064: 923D3D3C
	s_add_u32 s82, s82, s61                                    // 000000009068: 80523D52
	v_mul_lo_u32 v6, v5, s82                                   // 00000000906C: D2850006 0000A505
	v_readlane_b32 s82, v3, 5                                  // 000000009074: D2890052 00010B03
	s_lshr_b32 s61, s82, 24                                    // 00000000907C: 8F3D9852
	s_and_b32 s82, s82, 0xffffff                               // 000000009080: 8652FF52 00FFFFFF
	s_mul_i32 s82, s82, s71                                    // 000000009088: 92524752
	s_mul_i32 s61, s60, s61                                    // 00000000908C: 923D3D3C
	s_add_u32 s82, s82, s61                                    // 000000009090: 80523D52
	v_mul_lo_u32 v7, v4, s82                                   // 000000009094: D2850007 0000A504
	v_add_u32_e32 v72, v6, v7                                  // 00000000909C: 68900F06
	v_readlane_b32 s82, v3, 6                                  // 0000000090A0: D2890052 00010D03
	s_lshr_b32 s61, s82, 24                                    // 0000000090A8: 8F3D9852
	s_and_b32 s82, s82, 0xffffff                               // 0000000090AC: 8652FF52 00FFFFFF
	s_mul_i32 s82, s82, s71                                    // 0000000090B4: 92524752
	s_mul_i32 s61, s60, s61                                    // 0000000090B8: 923D3D3C
	s_add_u32 s82, s82, s61                                    // 0000000090BC: 80523D52
	v_mul_lo_u32 v6, v5, s82                                   // 0000000090C0: D2850006 0000A505
	v_readlane_b32 s82, v3, 7                                  // 0000000090C8: D2890052 00010F03
	s_lshr_b32 s61, s82, 24                                    // 0000000090D0: 8F3D9852
	s_and_b32 s82, s82, 0xffffff                               // 0000000090D4: 8652FF52 00FFFFFF
	s_mul_i32 s82, s82, s71                                    // 0000000090DC: 92524752
	s_mul_i32 s61, s60, s61                                    // 0000000090E0: 923D3D3C
	s_add_u32 s82, s82, s61                                    // 0000000090E4: 80523D52
	v_mul_lo_u32 v7, v4, s82                                   // 0000000090E8: D2850007 0000A504
	v_add_u32_e32 v73, v6, v7                                  // 0000000090F0: 68920F06
	v_readlane_b32 s82, v3, 8                                  // 0000000090F4: D2890052 00011103
	s_lshr_b32 s61, s82, 24                                    // 0000000090FC: 8F3D9852
	s_and_b32 s82, s82, 0xffffff                               // 000000009100: 8652FF52 00FFFFFF
	s_mul_i32 s82, s82, s71                                    // 000000009108: 92524752
	s_mul_i32 s61, s60, s61                                    // 00000000910C: 923D3D3C
	s_add_u32 s82, s82, s61                                    // 000000009110: 80523D52
	v_mul_lo_u32 v6, v5, s82                                   // 000000009114: D2850006 0000A505
	v_readlane_b32 s82, v3, 9                                  // 00000000911C: D2890052 00011303
	s_lshr_b32 s61, s82, 24                                    // 000000009124: 8F3D9852
	s_and_b32 s82, s82, 0xffffff                               // 000000009128: 8652FF52 00FFFFFF
	s_mul_i32 s82, s82, s71                                    // 000000009130: 92524752
	s_mul_i32 s61, s60, s61                                    // 000000009134: 923D3D3C
	s_add_u32 s82, s82, s61                                    // 000000009138: 80523D52
	v_mul_lo_u32 v7, v4, s82                                   // 00000000913C: D2850007 0000A504
	v_add_u32_e32 v74, v6, v7                                  // 000000009144: 68940F06
	v_readlane_b32 s82, v3, 10                                 // 000000009148: D2890052 00011503
	s_lshr_b32 s61, s82, 24                                    // 000000009150: 8F3D9852
	s_and_b32 s82, s82, 0xffffff                               // 000000009154: 8652FF52 00FFFFFF
	s_mul_i32 s82, s82, s71                                    // 00000000915C: 92524752
	s_mul_i32 s61, s60, s61                                    // 000000009160: 923D3D3C
	s_add_u32 s82, s82, s61                                    // 000000009164: 80523D52
	v_mul_lo_u32 v6, v5, s82                                   // 000000009168: D2850006 0000A505
	v_readlane_b32 s82, v3, 11                                 // 000000009170: D2890052 00011703
	s_lshr_b32 s61, s82, 24                                    // 000000009178: 8F3D9852
	s_and_b32 s82, s82, 0xffffff                               // 00000000917C: 8652FF52 00FFFFFF
	s_mul_i32 s82, s82, s71                                    // 000000009184: 92524752
	s_mul_i32 s61, s60, s61                                    // 000000009188: 923D3D3C
	s_add_u32 s82, s82, s61                                    // 00000000918C: 80523D52
	v_mul_lo_u32 v7, v4, s82                                   // 000000009190: D2850007 0000A504
	v_add_u32_e32 v75, v6, v7                                  // 000000009198: 68960F06
	v_readlane_b32 s82, v3, 12                                 // 00000000919C: D2890052 00011903
	s_lshr_b32 s61, s82, 24                                    // 0000000091A4: 8F3D9852
	s_and_b32 s82, s82, 0xffffff                               // 0000000091A8: 8652FF52 00FFFFFF
	s_mul_i32 s82, s82, s71                                    // 0000000091B0: 92524752
	s_mul_i32 s61, s60, s61                                    // 0000000091B4: 923D3D3C
	s_add_u32 s82, s82, s61                                    // 0000000091B8: 80523D52
	v_mul_lo_u32 v6, v5, s82                                   // 0000000091BC: D2850006 0000A505
	v_readlane_b32 s82, v3, 13                                 // 0000000091C4: D2890052 00011B03
	s_lshr_b32 s61, s82, 24                                    // 0000000091CC: 8F3D9852
	s_and_b32 s82, s82, 0xffffff                               // 0000000091D0: 8652FF52 00FFFFFF
	s_mul_i32 s82, s82, s71                                    // 0000000091D8: 92524752
	s_mul_i32 s61, s60, s61                                    // 0000000091DC: 923D3D3C
	s_add_u32 s82, s82, s61                                    // 0000000091E0: 80523D52
	v_mul_lo_u32 v7, v4, s82                                   // 0000000091E4: D2850007 0000A504
	v_add_u32_e32 v76, v6, v7                                  // 0000000091EC: 68980F06
	v_readlane_b32 s82, v3, 14                                 // 0000000091F0: D2890052 00011D03
	s_lshr_b32 s61, s82, 24                                    // 0000000091F8: 8F3D9852
	s_and_b32 s82, s82, 0xffffff                               // 0000000091FC: 8652FF52 00FFFFFF
	s_mul_i32 s82, s82, s71                                    // 000000009204: 92524752
	s_mul_i32 s61, s60, s61                                    // 000000009208: 923D3D3C
	s_add_u32 s82, s82, s61                                    // 00000000920C: 80523D52
	v_mul_lo_u32 v6, v5, s82                                   // 000000009210: D2850006 0000A505
	v_readlane_b32 s82, v3, 15                                 // 000000009218: D2890052 00011F03
	s_lshr_b32 s61, s82, 24                                    // 000000009220: 8F3D9852
	s_and_b32 s82, s82, 0xffffff                               // 000000009224: 8652FF52 00FFFFFF
	s_mul_i32 s82, s82, s71                                    // 00000000922C: 92524752
	s_mul_i32 s61, s60, s61                                    // 000000009230: 923D3D3C
	s_add_u32 s82, s82, s61                                    // 000000009234: 80523D52
	v_mul_lo_u32 v7, v4, s82                                   // 000000009238: D2850007 0000A504
	v_add_u32_e32 v77, v6, v7                                  // 000000009240: 689A0F06
	v_readlane_b32 s82, v3, 16                                 // 000000009244: D2890052 00012103
	s_lshr_b32 s61, s82, 24                                    // 00000000924C: 8F3D9852
	s_and_b32 s82, s82, 0xffffff                               // 000000009250: 8652FF52 00FFFFFF
	s_mul_i32 s82, s82, s71                                    // 000000009258: 92524752
	s_mul_i32 s61, s60, s61                                    // 00000000925C: 923D3D3C
	s_add_u32 s82, s82, s61                                    // 000000009260: 80523D52
	v_mul_lo_u32 v6, v5, s82                                   // 000000009264: D2850006 0000A505
	v_readlane_b32 s82, v3, 17                                 // 00000000926C: D2890052 00012303
	s_lshr_b32 s61, s82, 24                                    // 000000009274: 8F3D9852
	s_and_b32 s82, s82, 0xffffff                               // 000000009278: 8652FF52 00FFFFFF
	s_mul_i32 s82, s82, s71                                    // 000000009280: 92524752
	s_mul_i32 s61, s60, s61                                    // 000000009284: 923D3D3C
	s_add_u32 s82, s82, s61                                    // 000000009288: 80523D52
	v_mul_lo_u32 v7, v4, s82                                   // 00000000928C: D2850007 0000A504
	v_add_u32_e32 v78, v6, v7                                  // 000000009294: 689C0F06
	v_readlane_b32 s82, v3, 18                                 // 000000009298: D2890052 00012503
	s_lshr_b32 s61, s82, 24                                    // 0000000092A0: 8F3D9852
	s_and_b32 s82, s82, 0xffffff                               // 0000000092A4: 8652FF52 00FFFFFF
	s_mul_i32 s82, s82, s71                                    // 0000000092AC: 92524752
	s_mul_i32 s61, s60, s61                                    // 0000000092B0: 923D3D3C
	s_add_u32 s82, s82, s61                                    // 0000000092B4: 80523D52
	v_mul_lo_u32 v6, v5, s82                                   // 0000000092B8: D2850006 0000A505
	v_readlane_b32 s82, v3, 19                                 // 0000000092C0: D2890052 00012703
	s_lshr_b32 s61, s82, 24                                    // 0000000092C8: 8F3D9852
	s_and_b32 s82, s82, 0xffffff                               // 0000000092CC: 8652FF52 00FFFFFF
	s_mul_i32 s82, s82, s71                                    // 0000000092D4: 92524752
	s_mul_i32 s61, s60, s61                                    // 0000000092D8: 923D3D3C
	s_add_u32 s82, s82, s61                                    // 0000000092DC: 80523D52
	v_mul_lo_u32 v7, v4, s82                                   // 0000000092E0: D2850007 0000A504
	v_add_u32_e32 v79, v6, v7                                  // 0000000092E8: 689E0F06
	v_readlane_b32 s82, v3, 20                                 // 0000000092EC: D2890052 00012903
	s_lshr_b32 s61, s82, 24                                    // 0000000092F4: 8F3D9852
	s_and_b32 s82, s82, 0xffffff                               // 0000000092F8: 8652FF52 00FFFFFF
	s_mul_i32 s82, s82, s71                                    // 000000009300: 92524752
	s_mul_i32 s61, s60, s61                                    // 000000009304: 923D3D3C
	s_add_u32 s82, s82, s61                                    // 000000009308: 80523D52
	v_mul_lo_u32 v6, v5, s82                                   // 00000000930C: D2850006 0000A505
	v_readlane_b32 s82, v3, 21                                 // 000000009314: D2890052 00012B03
	s_lshr_b32 s61, s82, 24                                    // 00000000931C: 8F3D9852
	s_and_b32 s82, s82, 0xffffff                               // 000000009320: 8652FF52 00FFFFFF
	s_mul_i32 s82, s82, s71                                    // 000000009328: 92524752
	s_mul_i32 s61, s60, s61                                    // 00000000932C: 923D3D3C
	s_add_u32 s82, s82, s61                                    // 000000009330: 80523D52
	v_mul_lo_u32 v7, v4, s82                                   // 000000009334: D2850007 0000A504
	v_add_u32_e32 v80, v6, v7                                  // 00000000933C: 68A00F06
	v_readlane_b32 s82, v3, 22                                 // 000000009340: D2890052 00012D03
	s_lshr_b32 s61, s82, 24                                    // 000000009348: 8F3D9852
	s_and_b32 s82, s82, 0xffffff                               // 00000000934C: 8652FF52 00FFFFFF
	s_mul_i32 s82, s82, s71                                    // 000000009354: 92524752
	s_mul_i32 s61, s60, s61                                    // 000000009358: 923D3D3C
	s_add_u32 s82, s82, s61                                    // 00000000935C: 80523D52
	v_mul_lo_u32 v6, v5, s82                                   // 000000009360: D2850006 0000A505
	v_readlane_b32 s82, v3, 23                                 // 000000009368: D2890052 00012F03
	s_lshr_b32 s61, s82, 24                                    // 000000009370: 8F3D9852
	s_and_b32 s82, s82, 0xffffff                               // 000000009374: 8652FF52 00FFFFFF
	s_mul_i32 s82, s82, s71                                    // 00000000937C: 92524752
	s_mul_i32 s61, s60, s61                                    // 000000009380: 923D3D3C
	s_add_u32 s82, s82, s61                                    // 000000009384: 80523D52
	v_mul_lo_u32 v7, v4, s82                                   // 000000009388: D2850007 0000A504
	v_add_u32_e32 v81, v6, v7                                  // 000000009390: 68A20F06
	v_readlane_b32 s82, v3, 24                                 // 000000009394: D2890052 00013103
	s_lshr_b32 s61, s82, 24                                    // 00000000939C: 8F3D9852
	s_and_b32 s82, s82, 0xffffff                               // 0000000093A0: 8652FF52 00FFFFFF
	s_mul_i32 s82, s82, s71                                    // 0000000093A8: 92524752
	s_mul_i32 s61, s60, s61                                    // 0000000093AC: 923D3D3C
	s_add_u32 s82, s82, s61                                    // 0000000093B0: 80523D52
	v_mul_lo_u32 v6, v5, s82                                   // 0000000093B4: D2850006 0000A505
	v_readlane_b32 s82, v3, 25                                 // 0000000093BC: D2890052 00013303
	s_lshr_b32 s61, s82, 24                                    // 0000000093C4: 8F3D9852
	s_and_b32 s82, s82, 0xffffff                               // 0000000093C8: 8652FF52 00FFFFFF
	s_mul_i32 s82, s82, s71                                    // 0000000093D0: 92524752
	s_mul_i32 s61, s60, s61                                    // 0000000093D4: 923D3D3C
	s_add_u32 s82, s82, s61                                    // 0000000093D8: 80523D52
	v_mul_lo_u32 v7, v4, s82                                   // 0000000093DC: D2850007 0000A504
	v_add_u32_e32 v82, v6, v7                                  // 0000000093E4: 68A40F06
	v_readlane_b32 s82, v3, 26                                 // 0000000093E8: D2890052 00013503
	s_lshr_b32 s61, s82, 24                                    // 0000000093F0: 8F3D9852
	s_and_b32 s82, s82, 0xffffff                               // 0000000093F4: 8652FF52 00FFFFFF
	s_mul_i32 s82, s82, s71                                    // 0000000093FC: 92524752
	s_mul_i32 s61, s60, s61                                    // 000000009400: 923D3D3C
	s_add_u32 s82, s82, s61                                    // 000000009404: 80523D52
	v_mul_lo_u32 v6, v5, s82                                   // 000000009408: D2850006 0000A505
	v_readlane_b32 s82, v3, 27                                 // 000000009410: D2890052 00013703
	s_lshr_b32 s61, s82, 24                                    // 000000009418: 8F3D9852
	s_and_b32 s82, s82, 0xffffff                               // 00000000941C: 8652FF52 00FFFFFF
	s_mul_i32 s82, s82, s71                                    // 000000009424: 92524752
	s_mul_i32 s61, s60, s61                                    // 000000009428: 923D3D3C
	s_add_u32 s82, s82, s61                                    // 00000000942C: 80523D52
	v_mul_lo_u32 v7, v4, s82                                   // 000000009430: D2850007 0000A504
	v_add_u32_e32 v83, v6, v7                                  // 000000009438: 68A60F06
	v_readlane_b32 s82, v3, 28                                 // 00000000943C: D2890052 00013903
	s_lshr_b32 s61, s82, 24                                    // 000000009444: 8F3D9852
	s_and_b32 s82, s82, 0xffffff                               // 000000009448: 8652FF52 00FFFFFF
	s_mul_i32 s82, s82, s71                                    // 000000009450: 92524752
	s_mul_i32 s61, s60, s61                                    // 000000009454: 923D3D3C
	s_add_u32 s82, s82, s61                                    // 000000009458: 80523D52
	v_mul_lo_u32 v6, v5, s82                                   // 00000000945C: D2850006 0000A505
	v_readlane_b32 s82, v3, 29                                 // 000000009464: D2890052 00013B03
	s_lshr_b32 s61, s82, 24                                    // 00000000946C: 8F3D9852
	s_and_b32 s82, s82, 0xffffff                               // 000000009470: 8652FF52 00FFFFFF
	s_mul_i32 s82, s82, s71                                    // 000000009478: 92524752
	s_mul_i32 s61, s60, s61                                    // 00000000947C: 923D3D3C
	s_add_u32 s82, s82, s61                                    // 000000009480: 80523D52
	v_mul_lo_u32 v7, v4, s82                                   // 000000009484: D2850007 0000A504
	v_add_u32_e32 v84, v6, v7                                  // 00000000948C: 68A80F06
	v_readlane_b32 s82, v3, 30                                 // 000000009490: D2890052 00013D03
	s_lshr_b32 s61, s82, 24                                    // 000000009498: 8F3D9852
	s_and_b32 s82, s82, 0xffffff                               // 00000000949C: 8652FF52 00FFFFFF
	s_mul_i32 s82, s82, s71                                    // 0000000094A4: 92524752
	s_mul_i32 s61, s60, s61                                    // 0000000094A8: 923D3D3C
	s_add_u32 s82, s82, s61                                    // 0000000094AC: 80523D52
	v_mul_lo_u32 v6, v5, s82                                   // 0000000094B0: D2850006 0000A505
	v_readlane_b32 s82, v3, 31                                 // 0000000094B8: D2890052 00013F03
	s_lshr_b32 s61, s82, 24                                    // 0000000094C0: 8F3D9852
	s_and_b32 s82, s82, 0xffffff                               // 0000000094C4: 8652FF52 00FFFFFF
	s_mul_i32 s82, s82, s71                                    // 0000000094CC: 92524752
	s_mul_i32 s61, s60, s61                                    // 0000000094D0: 923D3D3C
	s_add_u32 s82, s82, s61                                    // 0000000094D4: 80523D52
	v_mul_lo_u32 v7, v4, s82                                   // 0000000094D8: D2850007 0000A504
	v_add_u32_e32 v85, v6, v7                                  // 0000000094E0: 68AA0F06
	v_readlane_b32 s82, v3, 32                                 // 0000000094E4: D2890052 00014103
	s_lshr_b32 s61, s82, 24                                    // 0000000094EC: 8F3D9852
	s_and_b32 s82, s82, 0xffffff                               // 0000000094F0: 8652FF52 00FFFFFF
	s_mul_i32 s82, s82, s71                                    // 0000000094F8: 92524752
	s_mul_i32 s61, s60, s61                                    // 0000000094FC: 923D3D3C
	s_add_u32 s82, s82, s61                                    // 000000009500: 80523D52
	v_mul_lo_u32 v6, v5, s82                                   // 000000009504: D2850006 0000A505
	v_readlane_b32 s82, v3, 33                                 // 00000000950C: D2890052 00014303
	s_lshr_b32 s61, s82, 24                                    // 000000009514: 8F3D9852
	s_and_b32 s82, s82, 0xffffff                               // 000000009518: 8652FF52 00FFFFFF
	s_mul_i32 s82, s82, s71                                    // 000000009520: 92524752
	s_mul_i32 s61, s60, s61                                    // 000000009524: 923D3D3C
	s_add_u32 s82, s82, s61                                    // 000000009528: 80523D52
	v_mul_lo_u32 v7, v4, s82                                   // 00000000952C: D2850007 0000A504
	v_add_u32_e32 v86, v6, v7                                  // 000000009534: 68AC0F06
	v_readlane_b32 s82, v3, 34                                 // 000000009538: D2890052 00014503
	s_lshr_b32 s61, s82, 24                                    // 000000009540: 8F3D9852
	s_and_b32 s82, s82, 0xffffff                               // 000000009544: 8652FF52 00FFFFFF
	s_mul_i32 s82, s82, s71                                    // 00000000954C: 92524752
	s_mul_i32 s61, s60, s61                                    // 000000009550: 923D3D3C
	s_add_u32 s82, s82, s61                                    // 000000009554: 80523D52
	v_mul_lo_u32 v6, v5, s82                                   // 000000009558: D2850006 0000A505
	v_readlane_b32 s82, v3, 35                                 // 000000009560: D2890052 00014703
	s_lshr_b32 s61, s82, 24                                    // 000000009568: 8F3D9852
	s_and_b32 s82, s82, 0xffffff                               // 00000000956C: 8652FF52 00FFFFFF
	s_mul_i32 s82, s82, s71                                    // 000000009574: 92524752
	s_mul_i32 s61, s60, s61                                    // 000000009578: 923D3D3C
	s_add_u32 s82, s82, s61                                    // 00000000957C: 80523D52
	v_mul_lo_u32 v7, v4, s82                                   // 000000009580: D2850007 0000A504
	v_add_u32_e32 v87, v6, v7                                  // 000000009588: 68AE0F06
	v_readlane_b32 s82, v3, 36                                 // 00000000958C: D2890052 00014903
	s_lshr_b32 s61, s82, 24                                    // 000000009594: 8F3D9852
	s_and_b32 s82, s82, 0xffffff                               // 000000009598: 8652FF52 00FFFFFF
	s_mul_i32 s82, s82, s71                                    // 0000000095A0: 92524752
	s_mul_i32 s61, s60, s61                                    // 0000000095A4: 923D3D3C
	s_add_u32 s82, s82, s61                                    // 0000000095A8: 80523D52
	v_mul_lo_u32 v6, v5, s82                                   // 0000000095AC: D2850006 0000A505
	v_readlane_b32 s82, v3, 37                                 // 0000000095B4: D2890052 00014B03
	s_lshr_b32 s61, s82, 24                                    // 0000000095BC: 8F3D9852
	s_and_b32 s82, s82, 0xffffff                               // 0000000095C0: 8652FF52 00FFFFFF
	s_mul_i32 s82, s82, s71                                    // 0000000095C8: 92524752
	s_mul_i32 s61, s60, s61                                    // 0000000095CC: 923D3D3C
	s_add_u32 s82, s82, s61                                    // 0000000095D0: 80523D52
	v_mul_lo_u32 v7, v4, s82                                   // 0000000095D4: D2850007 0000A504
	v_add_u32_e32 v88, v6, v7                                  // 0000000095DC: 68B00F06
	v_readlane_b32 s82, v3, 38                                 // 0000000095E0: D2890052 00014D03
	s_lshr_b32 s61, s82, 24                                    // 0000000095E8: 8F3D9852
	s_and_b32 s82, s82, 0xffffff                               // 0000000095EC: 8652FF52 00FFFFFF
	s_mul_i32 s82, s82, s71                                    // 0000000095F4: 92524752
	s_mul_i32 s61, s60, s61                                    // 0000000095F8: 923D3D3C
	s_add_u32 s82, s82, s61                                    // 0000000095FC: 80523D52
	v_mul_lo_u32 v6, v5, s82                                   // 000000009600: D2850006 0000A505
	v_readlane_b32 s82, v3, 39                                 // 000000009608: D2890052 00014F03
	s_lshr_b32 s61, s82, 24                                    // 000000009610: 8F3D9852
	s_and_b32 s82, s82, 0xffffff                               // 000000009614: 8652FF52 00FFFFFF
	s_mul_i32 s82, s82, s71                                    // 00000000961C: 92524752
	s_mul_i32 s61, s60, s61                                    // 000000009620: 923D3D3C
	s_add_u32 s82, s82, s61                                    // 000000009624: 80523D52
	v_mul_lo_u32 v7, v4, s82                                   // 000000009628: D2850007 0000A504
	v_add_u32_e32 v89, v6, v7                                  // 000000009630: 68B20F06
	v_and_b32_e32 v4, 31, v0                                   // 000000009634: 2608009F
	v_lshrrev_b32_e32 v4, 1, v4                                // 000000009638: 20080881
	s_cmp_eq_u32 s88, 0                                        // 00000000963C: BF068058
	s_cselect_b32 s61, 2, 4                                    // 000000009640: 853D8482
	v_mul_lo_u32 v4, v4, s61                                   // 000000009644: D2850004 00007B04
	v_and_b32_e64 v5, v0, 1                                    // 00000000964C: D1130005 00010300
	v_add_u32_e32 v4, v4, v5                                   // 000000009654: 68080B04
	v_lshlrev_b32_e32 v4, 2, v4                                // 000000009658: 24080882
	v_add_u32_e32 v70, v70, v4                                 // 00000000965C: 688C0946
	v_add_u32_e32 v71, v71, v4                                 // 000000009660: 688E0947
	v_add_u32_e32 v72, v72, v4                                 // 000000009664: 68900948
	v_add_u32_e32 v73, v73, v4                                 // 000000009668: 68920949
	v_add_u32_e32 v74, v74, v4                                 // 00000000966C: 6894094A
	v_add_u32_e32 v75, v75, v4                                 // 000000009670: 6896094B
	v_add_u32_e32 v76, v76, v4                                 // 000000009674: 6898094C
	v_add_u32_e32 v77, v77, v4                                 // 000000009678: 689A094D
	v_add_u32_e32 v78, v78, v4                                 // 00000000967C: 689C094E
	v_add_u32_e32 v79, v79, v4                                 // 000000009680: 689E094F
	v_add_u32_e32 v80, v80, v4                                 // 000000009684: 68A00950
	v_add_u32_e32 v81, v81, v4                                 // 000000009688: 68A20951
	v_add_u32_e32 v82, v82, v4                                 // 00000000968C: 68A40952
	v_add_u32_e32 v83, v83, v4                                 // 000000009690: 68A60953
	v_add_u32_e32 v84, v84, v4                                 // 000000009694: 68A80954
	v_add_u32_e32 v85, v85, v4                                 // 000000009698: 68AA0955
	v_add_u32_e32 v86, v86, v4                                 // 00000000969C: 68AC0956
	v_add_u32_e32 v87, v87, v4                                 // 0000000096A0: 68AE0957
	v_add_u32_e32 v88, v88, v4                                 // 0000000096A4: 68B00958
	v_add_u32_e32 v89, v89, v4                                 // 0000000096A8: 68B20959
	s_waitcnt lgkmcnt(0)                                       // 0000000096AC: BF8CC07F
	s_barrier                                                  // 0000000096B0: BF8A0000
	ds_read_b32 v92, v21                                       // 0000000096B4: D86C0000 5C000015
	ds_read_b32 v93, v21 offset:64                             // 0000000096BC: D86C0040 5D000015
	ds_read_b32 v94, v21 offset:2176                           // 0000000096C4: D86C0880 5E000015
	ds_read_b32 v95, v21 offset:2240                           // 0000000096CC: D86C08C0 5F000015
	ds_read_b32 v96, v21 offset:4352                           // 0000000096D4: D86C1100 60000015
	ds_read_b32 v97, v21 offset:4416                           // 0000000096DC: D86C1140 61000015
	ds_read_b32 v98, v21 offset:6528                           // 0000000096E4: D86C1980 62000015
	ds_read_b32 v99, v21 offset:6592                           // 0000000096EC: D86C19C0 63000015
	ds_read_b32 v100, v21 offset:8704                          // 0000000096F4: D86C2200 64000015
	ds_read_b32 v101, v21 offset:8768                          // 0000000096FC: D86C2240 65000015
	ds_read_b32 v102, v21 offset:10880                         // 000000009704: D86C2A80 66000015
	ds_read_b32 v103, v21 offset:10944                         // 00000000970C: D86C2AC0 67000015
	ds_read_b32 v104, v21 offset:13056                         // 000000009714: D86C3300 68000015
	ds_read_b32 v105, v21 offset:13120                         // 00000000971C: D86C3340 69000015
	ds_read_b32 v106, v21 offset:15232                         // 000000009724: D86C3B80 6A000015
	ds_read_b32 v107, v21 offset:15296                         // 00000000972C: D86C3BC0 6B000015
	ds_read_b32 v108, v21 offset:17408                         // 000000009734: D86C4400 6C000015
	ds_read_b32 v109, v21 offset:17472                         // 00000000973C: D86C4440 6D000015
	ds_read_b32 v110, v21 offset:19584                         // 000000009744: D86C4C80 6E000015
	ds_read_b32 v111, v21 offset:19648                         // 00000000974C: D86C4CC0 6F000015
	ds_read_b32 v112, v21 offset:21760                         // 000000009754: D86C5500 70000015
	ds_read_b32 v113, v21 offset:21824                         // 00000000975C: D86C5540 71000015
	ds_read_b32 v114, v21 offset:23936                         // 000000009764: D86C5D80 72000015
	ds_read_b32 v115, v21 offset:24000                         // 00000000976C: D86C5DC0 73000015
	ds_read_b32 v116, v21 offset:26112                         // 000000009774: D86C6600 74000015
	ds_read_b32 v117, v21 offset:26176                         // 00000000977C: D86C6640 75000015
	ds_read_b32 v118, v21 offset:28288                         // 000000009784: D86C6E80 76000015
	ds_read_b32 v119, v21 offset:28352                         // 00000000978C: D86C6EC0 77000015
	ds_read_b32 v120, v21 offset:30464                         // 000000009794: D86C7700 78000015
	ds_read_b32 v121, v21 offset:30528                         // 00000000979C: D86C7740 79000015
	ds_read_b32 v122, v21 offset:32640                         // 0000000097A4: D86C7F80 7A000015
	ds_read_b32 v123, v21 offset:32704                         // 0000000097AC: D86C7FC0 7B000015
	ds_read_b32 v124, v21 offset:34816                         // 0000000097B4: D86C8800 7C000015
	ds_read_b32 v125, v21 offset:34880                         // 0000000097BC: D86C8840 7D000015
	ds_read_b32 v126, v21 offset:36992                         // 0000000097C4: D86C9080 7E000015
	ds_read_b32 v127, v21 offset:37056                         // 0000000097CC: D86C90C0 7F000015
	ds_read_b32 v128, v21 offset:39168                         // 0000000097D4: D86C9900 80000015
	ds_read_b32 v129, v21 offset:39232                         // 0000000097DC: D86C9940 81000015
	ds_read_b32 v130, v21 offset:41344                         // 0000000097E4: D86CA180 82000015
	ds_read_b32 v131, v21 offset:41408                         // 0000000097EC: D86CA1C0 83000015
	s_waitcnt lgkmcnt(0)                                       // 0000000097F4: BF8CC07F
	s_mov_b32 s36, -1                                          // 0000000097F8: BEA400C1
	s_mov_b32 s37, -1                                          // 0000000097FC: BEA500C1
	v_mov_b32_e32 v7, 0                                        // 000000009800: 7E0E0280
	s_or_b32 s9, s9, 0x40000                                   // 000000009804: 8709FF09 00040000
	s_mov_b64 exec, s[36:37]                                   // 00000000980C: BEFE0124
	v_mov_b32_e32 v6, v70                                      // 000000009810: 7E0C0346
	s_mov_b64 s[60:61], 0                                      // 000000009814: BEBC0180
	v_readlane_b32 s82, v3, 0                                  // 000000009818: D2890052 00010103
	s_and_b32 s82, s82, 0xffffff                               // 000000009820: 8652FF52 00FFFFFF
	s_cmp_lt_u32 s82, s66                                      // 000000009828: BF0A4252
	s_cselect_b32 s20, s36, s60                                // 00000000982C: 85143C24
	v_readlane_b32 s82, v3, 1                                  // 000000009830: D2890052 00010303
	s_and_b32 s82, s82, 0xffffff                               // 000000009838: 8652FF52 00FFFFFF
	s_cmp_lt_u32 s82, s66                                      // 000000009840: BF0A4252
	s_cselect_b32 s21, s36, s60                                // 000000009844: 85153C24
	s_mov_b64 exec, s[20:21]                                   // 000000009848: BEFE0114
	buffer_store_dword v92, v6, s[8:11], 0 offen               // 00000000984C: E0701000 80025C06
	buffer_store_dword v94, v6, s[8:11], 0 offen offset:128    // 000000009854: E0701080 80025E06
	s_mov_b64 exec, s[36:37]                                   // 00000000985C: BEFE0124
	v_mov_b32_e32 v6, v71                                      // 000000009860: 7E0C0347
	s_mov_b64 s[60:61], 0                                      // 000000009864: BEBC0180
	v_readlane_b32 s82, v3, 2                                  // 000000009868: D2890052 00010503
	s_and_b32 s82, s82, 0xffffff                               // 000000009870: 8652FF52 00FFFFFF
	s_cmp_lt_u32 s82, s66                                      // 000000009878: BF0A4252
	s_cselect_b32 s20, s36, s60                                // 00000000987C: 85143C24
	v_readlane_b32 s82, v3, 3                                  // 000000009880: D2890052 00010703
	s_and_b32 s82, s82, 0xffffff                               // 000000009888: 8652FF52 00FFFFFF
	s_cmp_lt_u32 s82, s66                                      // 000000009890: BF0A4252
	s_cselect_b32 s21, s36, s60                                // 000000009894: 85153C24
	s_mov_b64 exec, s[20:21]                                   // 000000009898: BEFE0114
	buffer_store_dword v93, v6, s[8:11], 0 offen               // 00000000989C: E0701000 80025D06
	buffer_store_dword v95, v6, s[8:11], 0 offen offset:128    // 0000000098A4: E0701080 80025F06
	s_mov_b64 exec, s[36:37]                                   // 0000000098AC: BEFE0124
	v_mov_b32_e32 v6, v72                                      // 0000000098B0: 7E0C0348
	s_mov_b64 s[60:61], 0                                      // 0000000098B4: BEBC0180
	v_readlane_b32 s82, v3, 4                                  // 0000000098B8: D2890052 00010903
	s_and_b32 s82, s82, 0xffffff                               // 0000000098C0: 8652FF52 00FFFFFF
	s_cmp_lt_u32 s82, s66                                      // 0000000098C8: BF0A4252
	s_cselect_b32 s20, s36, s60                                // 0000000098CC: 85143C24
	v_readlane_b32 s82, v3, 5                                  // 0000000098D0: D2890052 00010B03
	s_and_b32 s82, s82, 0xffffff                               // 0000000098D8: 8652FF52 00FFFFFF
	s_cmp_lt_u32 s82, s66                                      // 0000000098E0: BF0A4252
	s_cselect_b32 s21, s36, s60                                // 0000000098E4: 85153C24
	s_mov_b64 exec, s[20:21]                                   // 0000000098E8: BEFE0114
	buffer_store_dword v96, v6, s[8:11], 0 offen               // 0000000098EC: E0701000 80026006
	buffer_store_dword v98, v6, s[8:11], 0 offen offset:128    // 0000000098F4: E0701080 80026206
	s_mov_b64 exec, s[36:37]                                   // 0000000098FC: BEFE0124
	v_mov_b32_e32 v6, v73                                      // 000000009900: 7E0C0349
	s_mov_b64 s[60:61], 0                                      // 000000009904: BEBC0180
	v_readlane_b32 s82, v3, 6                                  // 000000009908: D2890052 00010D03
	s_and_b32 s82, s82, 0xffffff                               // 000000009910: 8652FF52 00FFFFFF
	s_cmp_lt_u32 s82, s66                                      // 000000009918: BF0A4252
	s_cselect_b32 s20, s36, s60                                // 00000000991C: 85143C24
	v_readlane_b32 s82, v3, 7                                  // 000000009920: D2890052 00010F03
	s_and_b32 s82, s82, 0xffffff                               // 000000009928: 8652FF52 00FFFFFF
	s_cmp_lt_u32 s82, s66                                      // 000000009930: BF0A4252
	s_cselect_b32 s21, s36, s60                                // 000000009934: 85153C24
	s_mov_b64 exec, s[20:21]                                   // 000000009938: BEFE0114
	buffer_store_dword v97, v6, s[8:11], 0 offen               // 00000000993C: E0701000 80026106
	buffer_store_dword v99, v6, s[8:11], 0 offen offset:128    // 000000009944: E0701080 80026306
	s_mov_b64 exec, s[36:37]                                   // 00000000994C: BEFE0124
	v_mov_b32_e32 v6, v74                                      // 000000009950: 7E0C034A
	s_mov_b64 s[60:61], 0                                      // 000000009954: BEBC0180
	v_readlane_b32 s82, v3, 8                                  // 000000009958: D2890052 00011103
	s_and_b32 s82, s82, 0xffffff                               // 000000009960: 8652FF52 00FFFFFF
	s_cmp_lt_u32 s82, s66                                      // 000000009968: BF0A4252
	s_cselect_b32 s20, s36, s60                                // 00000000996C: 85143C24
	v_readlane_b32 s82, v3, 9                                  // 000000009970: D2890052 00011303
	s_and_b32 s82, s82, 0xffffff                               // 000000009978: 8652FF52 00FFFFFF
	s_cmp_lt_u32 s82, s66                                      // 000000009980: BF0A4252
	s_cselect_b32 s21, s36, s60                                // 000000009984: 85153C24
	s_mov_b64 exec, s[20:21]                                   // 000000009988: BEFE0114
	buffer_store_dword v100, v6, s[8:11], 0 offen              // 00000000998C: E0701000 80026406
	buffer_store_dword v102, v6, s[8:11], 0 offen offset:128   // 000000009994: E0701080 80026606
	s_mov_b64 exec, s[36:37]                                   // 00000000999C: BEFE0124
	v_mov_b32_e32 v6, v75                                      // 0000000099A0: 7E0C034B
	s_mov_b64 s[60:61], 0                                      // 0000000099A4: BEBC0180
	v_readlane_b32 s82, v3, 10                                 // 0000000099A8: D2890052 00011503
	s_and_b32 s82, s82, 0xffffff                               // 0000000099B0: 8652FF52 00FFFFFF
	s_cmp_lt_u32 s82, s66                                      // 0000000099B8: BF0A4252
	s_cselect_b32 s20, s36, s60                                // 0000000099BC: 85143C24
	v_readlane_b32 s82, v3, 11                                 // 0000000099C0: D2890052 00011703
	s_and_b32 s82, s82, 0xffffff                               // 0000000099C8: 8652FF52 00FFFFFF
	s_cmp_lt_u32 s82, s66                                      // 0000000099D0: BF0A4252
	s_cselect_b32 s21, s36, s60                                // 0000000099D4: 85153C24
	s_mov_b64 exec, s[20:21]                                   // 0000000099D8: BEFE0114
	buffer_store_dword v101, v6, s[8:11], 0 offen              // 0000000099DC: E0701000 80026506
	buffer_store_dword v103, v6, s[8:11], 0 offen offset:128   // 0000000099E4: E0701080 80026706
	s_mov_b64 exec, s[36:37]                                   // 0000000099EC: BEFE0124
	v_mov_b32_e32 v6, v76                                      // 0000000099F0: 7E0C034C
	s_mov_b64 s[60:61], 0                                      // 0000000099F4: BEBC0180
	v_readlane_b32 s82, v3, 12                                 // 0000000099F8: D2890052 00011903
	s_and_b32 s82, s82, 0xffffff                               // 000000009A00: 8652FF52 00FFFFFF
	s_cmp_lt_u32 s82, s66                                      // 000000009A08: BF0A4252
	s_cselect_b32 s20, s36, s60                                // 000000009A0C: 85143C24
	v_readlane_b32 s82, v3, 13                                 // 000000009A10: D2890052 00011B03
	s_and_b32 s82, s82, 0xffffff                               // 000000009A18: 8652FF52 00FFFFFF
	s_cmp_lt_u32 s82, s66                                      // 000000009A20: BF0A4252
	s_cselect_b32 s21, s36, s60                                // 000000009A24: 85153C24
	s_mov_b64 exec, s[20:21]                                   // 000000009A28: BEFE0114
	buffer_store_dword v104, v6, s[8:11], 0 offen              // 000000009A2C: E0701000 80026806
	buffer_store_dword v106, v6, s[8:11], 0 offen offset:128   // 000000009A34: E0701080 80026A06
	s_mov_b64 exec, s[36:37]                                   // 000000009A3C: BEFE0124
	v_mov_b32_e32 v6, v77                                      // 000000009A40: 7E0C034D
	s_mov_b64 s[60:61], 0                                      // 000000009A44: BEBC0180
	v_readlane_b32 s82, v3, 14                                 // 000000009A48: D2890052 00011D03
	s_and_b32 s82, s82, 0xffffff                               // 000000009A50: 8652FF52 00FFFFFF
	s_cmp_lt_u32 s82, s66                                      // 000000009A58: BF0A4252
	s_cselect_b32 s20, s36, s60                                // 000000009A5C: 85143C24
	v_readlane_b32 s82, v3, 15                                 // 000000009A60: D2890052 00011F03
	s_and_b32 s82, s82, 0xffffff                               // 000000009A68: 8652FF52 00FFFFFF
	s_cmp_lt_u32 s82, s66                                      // 000000009A70: BF0A4252
	s_cselect_b32 s21, s36, s60                                // 000000009A74: 85153C24
	s_mov_b64 exec, s[20:21]                                   // 000000009A78: BEFE0114
	buffer_store_dword v105, v6, s[8:11], 0 offen              // 000000009A7C: E0701000 80026906
	buffer_store_dword v107, v6, s[8:11], 0 offen offset:128   // 000000009A84: E0701080 80026B06
	s_mov_b64 exec, s[36:37]                                   // 000000009A8C: BEFE0124
	v_mov_b32_e32 v6, v78                                      // 000000009A90: 7E0C034E
	s_mov_b64 s[60:61], 0                                      // 000000009A94: BEBC0180
	v_readlane_b32 s82, v3, 16                                 // 000000009A98: D2890052 00012103
	s_and_b32 s82, s82, 0xffffff                               // 000000009AA0: 8652FF52 00FFFFFF
	s_cmp_lt_u32 s82, s66                                      // 000000009AA8: BF0A4252
	s_cselect_b32 s20, s36, s60                                // 000000009AAC: 85143C24
	v_readlane_b32 s82, v3, 17                                 // 000000009AB0: D2890052 00012303
	s_and_b32 s82, s82, 0xffffff                               // 000000009AB8: 8652FF52 00FFFFFF
	s_cmp_lt_u32 s82, s66                                      // 000000009AC0: BF0A4252
	s_cselect_b32 s21, s36, s60                                // 000000009AC4: 85153C24
	s_mov_b64 exec, s[20:21]                                   // 000000009AC8: BEFE0114
	buffer_store_dword v108, v6, s[8:11], 0 offen              // 000000009ACC: E0701000 80026C06
	buffer_store_dword v110, v6, s[8:11], 0 offen offset:128   // 000000009AD4: E0701080 80026E06
	s_mov_b64 exec, s[36:37]                                   // 000000009ADC: BEFE0124
	v_mov_b32_e32 v6, v79                                      // 000000009AE0: 7E0C034F
	s_mov_b64 s[60:61], 0                                      // 000000009AE4: BEBC0180
	v_readlane_b32 s82, v3, 18                                 // 000000009AE8: D2890052 00012503
	s_and_b32 s82, s82, 0xffffff                               // 000000009AF0: 8652FF52 00FFFFFF
	s_cmp_lt_u32 s82, s66                                      // 000000009AF8: BF0A4252
	s_cselect_b32 s20, s36, s60                                // 000000009AFC: 85143C24
	v_readlane_b32 s82, v3, 19                                 // 000000009B00: D2890052 00012703
	s_and_b32 s82, s82, 0xffffff                               // 000000009B08: 8652FF52 00FFFFFF
	s_cmp_lt_u32 s82, s66                                      // 000000009B10: BF0A4252
	s_cselect_b32 s21, s36, s60                                // 000000009B14: 85153C24
	s_mov_b64 exec, s[20:21]                                   // 000000009B18: BEFE0114
	buffer_store_dword v109, v6, s[8:11], 0 offen              // 000000009B1C: E0701000 80026D06
	buffer_store_dword v111, v6, s[8:11], 0 offen offset:128   // 000000009B24: E0701080 80026F06
	s_mov_b64 exec, s[36:37]                                   // 000000009B2C: BEFE0124
	v_mov_b32_e32 v6, v80                                      // 000000009B30: 7E0C0350
	s_mov_b64 s[60:61], 0                                      // 000000009B34: BEBC0180
	v_readlane_b32 s82, v3, 20                                 // 000000009B38: D2890052 00012903
	s_and_b32 s82, s82, 0xffffff                               // 000000009B40: 8652FF52 00FFFFFF
	s_cmp_lt_u32 s82, s66                                      // 000000009B48: BF0A4252
	s_cselect_b32 s20, s36, s60                                // 000000009B4C: 85143C24
	v_readlane_b32 s82, v3, 21                                 // 000000009B50: D2890052 00012B03
	s_and_b32 s82, s82, 0xffffff                               // 000000009B58: 8652FF52 00FFFFFF
	s_cmp_lt_u32 s82, s66                                      // 000000009B60: BF0A4252
	s_cselect_b32 s21, s36, s60                                // 000000009B64: 85153C24
	s_mov_b64 exec, s[20:21]                                   // 000000009B68: BEFE0114
	buffer_store_dword v112, v6, s[8:11], 0 offen              // 000000009B6C: E0701000 80027006
	buffer_store_dword v114, v6, s[8:11], 0 offen offset:128   // 000000009B74: E0701080 80027206
	s_mov_b64 exec, s[36:37]                                   // 000000009B7C: BEFE0124
	v_mov_b32_e32 v6, v81                                      // 000000009B80: 7E0C0351
	s_mov_b64 s[60:61], 0                                      // 000000009B84: BEBC0180
	v_readlane_b32 s82, v3, 22                                 // 000000009B88: D2890052 00012D03
	s_and_b32 s82, s82, 0xffffff                               // 000000009B90: 8652FF52 00FFFFFF
	s_cmp_lt_u32 s82, s66                                      // 000000009B98: BF0A4252
	s_cselect_b32 s20, s36, s60                                // 000000009B9C: 85143C24
	v_readlane_b32 s82, v3, 23                                 // 000000009BA0: D2890052 00012F03
	s_and_b32 s82, s82, 0xffffff                               // 000000009BA8: 8652FF52 00FFFFFF
	s_cmp_lt_u32 s82, s66                                      // 000000009BB0: BF0A4252
	s_cselect_b32 s21, s36, s60                                // 000000009BB4: 85153C24
	s_mov_b64 exec, s[20:21]                                   // 000000009BB8: BEFE0114
	buffer_store_dword v113, v6, s[8:11], 0 offen              // 000000009BBC: E0701000 80027106
	buffer_store_dword v115, v6, s[8:11], 0 offen offset:128   // 000000009BC4: E0701080 80027306
	s_mov_b64 exec, s[36:37]                                   // 000000009BCC: BEFE0124
	v_mov_b32_e32 v6, v82                                      // 000000009BD0: 7E0C0352
	s_mov_b64 s[60:61], 0                                      // 000000009BD4: BEBC0180
	v_readlane_b32 s82, v3, 24                                 // 000000009BD8: D2890052 00013103
	s_and_b32 s82, s82, 0xffffff                               // 000000009BE0: 8652FF52 00FFFFFF
	s_cmp_lt_u32 s82, s66                                      // 000000009BE8: BF0A4252
	s_cselect_b32 s20, s36, s60                                // 000000009BEC: 85143C24
	v_readlane_b32 s82, v3, 25                                 // 000000009BF0: D2890052 00013303
	s_and_b32 s82, s82, 0xffffff                               // 000000009BF8: 8652FF52 00FFFFFF
	s_cmp_lt_u32 s82, s66                                      // 000000009C00: BF0A4252
	s_cselect_b32 s21, s36, s60                                // 000000009C04: 85153C24
	s_mov_b64 exec, s[20:21]                                   // 000000009C08: BEFE0114
	buffer_store_dword v116, v6, s[8:11], 0 offen              // 000000009C0C: E0701000 80027406
	buffer_store_dword v118, v6, s[8:11], 0 offen offset:128   // 000000009C14: E0701080 80027606
	s_mov_b64 exec, s[36:37]                                   // 000000009C1C: BEFE0124
	v_mov_b32_e32 v6, v83                                      // 000000009C20: 7E0C0353
	s_mov_b64 s[60:61], 0                                      // 000000009C24: BEBC0180
	v_readlane_b32 s82, v3, 26                                 // 000000009C28: D2890052 00013503
	s_and_b32 s82, s82, 0xffffff                               // 000000009C30: 8652FF52 00FFFFFF
	s_cmp_lt_u32 s82, s66                                      // 000000009C38: BF0A4252
	s_cselect_b32 s20, s36, s60                                // 000000009C3C: 85143C24
	v_readlane_b32 s82, v3, 27                                 // 000000009C40: D2890052 00013703
	s_and_b32 s82, s82, 0xffffff                               // 000000009C48: 8652FF52 00FFFFFF
	s_cmp_lt_u32 s82, s66                                      // 000000009C50: BF0A4252
	s_cselect_b32 s21, s36, s60                                // 000000009C54: 85153C24
	s_mov_b64 exec, s[20:21]                                   // 000000009C58: BEFE0114
	buffer_store_dword v117, v6, s[8:11], 0 offen              // 000000009C5C: E0701000 80027506
	buffer_store_dword v119, v6, s[8:11], 0 offen offset:128   // 000000009C64: E0701080 80027706
	s_mov_b64 exec, s[36:37]                                   // 000000009C6C: BEFE0124
	v_mov_b32_e32 v6, v84                                      // 000000009C70: 7E0C0354
	s_mov_b64 s[60:61], 0                                      // 000000009C74: BEBC0180
	v_readlane_b32 s82, v3, 28                                 // 000000009C78: D2890052 00013903
	s_and_b32 s82, s82, 0xffffff                               // 000000009C80: 8652FF52 00FFFFFF
	s_cmp_lt_u32 s82, s66                                      // 000000009C88: BF0A4252
	s_cselect_b32 s20, s36, s60                                // 000000009C8C: 85143C24
	v_readlane_b32 s82, v3, 29                                 // 000000009C90: D2890052 00013B03
	s_and_b32 s82, s82, 0xffffff                               // 000000009C98: 8652FF52 00FFFFFF
	s_cmp_lt_u32 s82, s66                                      // 000000009CA0: BF0A4252
	s_cselect_b32 s21, s36, s60                                // 000000009CA4: 85153C24
	s_mov_b64 exec, s[20:21]                                   // 000000009CA8: BEFE0114
	buffer_store_dword v120, v6, s[8:11], 0 offen              // 000000009CAC: E0701000 80027806
	buffer_store_dword v122, v6, s[8:11], 0 offen offset:128   // 000000009CB4: E0701080 80027A06
	s_mov_b64 exec, s[36:37]                                   // 000000009CBC: BEFE0124
	v_mov_b32_e32 v6, v85                                      // 000000009CC0: 7E0C0355
	s_mov_b64 s[60:61], 0                                      // 000000009CC4: BEBC0180
	v_readlane_b32 s82, v3, 30                                 // 000000009CC8: D2890052 00013D03
	s_and_b32 s82, s82, 0xffffff                               // 000000009CD0: 8652FF52 00FFFFFF
	s_cmp_lt_u32 s82, s66                                      // 000000009CD8: BF0A4252
	s_cselect_b32 s20, s36, s60                                // 000000009CDC: 85143C24
	v_readlane_b32 s82, v3, 31                                 // 000000009CE0: D2890052 00013F03
	s_and_b32 s82, s82, 0xffffff                               // 000000009CE8: 8652FF52 00FFFFFF
	s_cmp_lt_u32 s82, s66                                      // 000000009CF0: BF0A4252
	s_cselect_b32 s21, s36, s60                                // 000000009CF4: 85153C24
	s_mov_b64 exec, s[20:21]                                   // 000000009CF8: BEFE0114
	buffer_store_dword v121, v6, s[8:11], 0 offen              // 000000009CFC: E0701000 80027906
	buffer_store_dword v123, v6, s[8:11], 0 offen offset:128   // 000000009D04: E0701080 80027B06
	s_mov_b64 exec, s[36:37]                                   // 000000009D0C: BEFE0124
	v_mov_b32_e32 v6, v86                                      // 000000009D10: 7E0C0356
	s_mov_b64 s[60:61], 0                                      // 000000009D14: BEBC0180
	v_readlane_b32 s82, v3, 32                                 // 000000009D18: D2890052 00014103
	s_and_b32 s82, s82, 0xffffff                               // 000000009D20: 8652FF52 00FFFFFF
	s_cmp_lt_u32 s82, s66                                      // 000000009D28: BF0A4252
	s_cselect_b32 s20, s36, s60                                // 000000009D2C: 85143C24
	v_readlane_b32 s82, v3, 33                                 // 000000009D30: D2890052 00014303
	s_and_b32 s82, s82, 0xffffff                               // 000000009D38: 8652FF52 00FFFFFF
	s_cmp_lt_u32 s82, s66                                      // 000000009D40: BF0A4252
	s_cselect_b32 s21, s36, s60                                // 000000009D44: 85153C24
	s_mov_b64 exec, s[20:21]                                   // 000000009D48: BEFE0114
	buffer_store_dword v124, v6, s[8:11], 0 offen              // 000000009D4C: E0701000 80027C06
	buffer_store_dword v126, v6, s[8:11], 0 offen offset:128   // 000000009D54: E0701080 80027E06
	s_mov_b64 exec, s[36:37]                                   // 000000009D5C: BEFE0124
	v_mov_b32_e32 v6, v87                                      // 000000009D60: 7E0C0357
	s_mov_b64 s[60:61], 0                                      // 000000009D64: BEBC0180
	v_readlane_b32 s82, v3, 34                                 // 000000009D68: D2890052 00014503
	s_and_b32 s82, s82, 0xffffff                               // 000000009D70: 8652FF52 00FFFFFF
	s_cmp_lt_u32 s82, s66                                      // 000000009D78: BF0A4252
	s_cselect_b32 s20, s36, s60                                // 000000009D7C: 85143C24
	v_readlane_b32 s82, v3, 35                                 // 000000009D80: D2890052 00014703
	s_and_b32 s82, s82, 0xffffff                               // 000000009D88: 8652FF52 00FFFFFF
	s_cmp_lt_u32 s82, s66                                      // 000000009D90: BF0A4252
	s_cselect_b32 s21, s36, s60                                // 000000009D94: 85153C24
	s_mov_b64 exec, s[20:21]                                   // 000000009D98: BEFE0114
	buffer_store_dword v125, v6, s[8:11], 0 offen              // 000000009D9C: E0701000 80027D06
	buffer_store_dword v127, v6, s[8:11], 0 offen offset:128   // 000000009DA4: E0701080 80027F06
	s_mov_b64 exec, s[36:37]                                   // 000000009DAC: BEFE0124
	v_mov_b32_e32 v6, v88                                      // 000000009DB0: 7E0C0358
	s_mov_b64 s[60:61], 0                                      // 000000009DB4: BEBC0180
	v_readlane_b32 s82, v3, 36                                 // 000000009DB8: D2890052 00014903
	s_and_b32 s82, s82, 0xffffff                               // 000000009DC0: 8652FF52 00FFFFFF
	s_cmp_lt_u32 s82, s66                                      // 000000009DC8: BF0A4252
	s_cselect_b32 s20, s36, s60                                // 000000009DCC: 85143C24
	v_readlane_b32 s82, v3, 37                                 // 000000009DD0: D2890052 00014B03
	s_and_b32 s82, s82, 0xffffff                               // 000000009DD8: 8652FF52 00FFFFFF
	s_cmp_lt_u32 s82, s66                                      // 000000009DE0: BF0A4252
	s_cselect_b32 s21, s36, s60                                // 000000009DE4: 85153C24
	s_mov_b64 exec, s[20:21]                                   // 000000009DE8: BEFE0114
	buffer_store_dword v128, v6, s[8:11], 0 offen              // 000000009DEC: E0701000 80028006
	buffer_store_dword v130, v6, s[8:11], 0 offen offset:128   // 000000009DF4: E0701080 80028206
	s_mov_b64 exec, s[36:37]                                   // 000000009DFC: BEFE0124
	v_mov_b32_e32 v6, v89                                      // 000000009E00: 7E0C0359
	s_mov_b64 s[60:61], 0                                      // 000000009E04: BEBC0180
	v_readlane_b32 s82, v3, 38                                 // 000000009E08: D2890052 00014D03
	s_and_b32 s82, s82, 0xffffff                               // 000000009E10: 8652FF52 00FFFFFF
	s_cmp_lt_u32 s82, s66                                      // 000000009E18: BF0A4252
	s_cselect_b32 s20, s36, s60                                // 000000009E1C: 85143C24
	v_readlane_b32 s82, v3, 39                                 // 000000009E20: D2890052 00014F03
	s_and_b32 s82, s82, 0xffffff                               // 000000009E28: 8652FF52 00FFFFFF
	s_cmp_lt_u32 s82, s66                                      // 000000009E30: BF0A4252
	s_cselect_b32 s21, s36, s60                                // 000000009E34: 85153C24
	s_mov_b64 exec, s[20:21]                                   // 000000009E38: BEFE0114
	buffer_store_dword v129, v6, s[8:11], 0 offen              // 000000009E3C: E0701000 80028106
	buffer_store_dword v131, v6, s[8:11], 0 offen offset:128   // 000000009E44: E0701080 80028306
	s_mov_b64 exec, s[36:37]                                   // 000000009E4C: BEFE0124
	s_branch label_49FE                                        // 000000009E50: BF822CE6

0000000000009e54 <label_1D15>:
	ds_write_b64 v20, v[92:93]                                 // 000000009E54: D89A0000 00005C14
	ds_write_b64 v20, v[96:97] offset:4352                     // 000000009E5C: D89A1100 00006014
	ds_write_b64 v20, v[100:101] offset:8704                   // 000000009E64: D89A2200 00006414
	ds_write_b64 v20, v[104:105] offset:13056                  // 000000009E6C: D89A3300 00006814
	ds_write_b64 v20, v[108:109] offset:17408                  // 000000009E74: D89A4400 00006C14
	ds_write_b64 v20, v[112:113] offset:21760                  // 000000009E7C: D89A5500 00007014
	ds_write_b64 v20, v[116:117] offset:26112                  // 000000009E84: D89A6600 00007414
	ds_write_b64 v20, v[120:121] offset:30464                  // 000000009E8C: D89A7700 00007814
	ds_write_b64 v20, v[124:125] offset:34816                  // 000000009E94: D89A8800 00007C14
	ds_write_b64 v20, v[128:129] offset:39168                  // 000000009E9C: D89A9900 00008014
	ds_write_b64 v20, v[132:133] offset:2176                   // 000000009EA4: D89A0880 00008414
	ds_write_b64 v20, v[136:137] offset:6528                   // 000000009EAC: D89A1980 00008814
	ds_write_b64 v20, v[140:141] offset:10880                  // 000000009EB4: D89A2A80 00008C14
	ds_write_b64 v20, v[144:145] offset:15232                  // 000000009EBC: D89A3B80 00009014
	ds_write_b64 v20, v[148:149] offset:19584                  // 000000009EC4: D89A4C80 00009414
	ds_write_b64 v20, v[152:153] offset:23936                  // 000000009ECC: D89A5D80 00009814
	ds_write_b64 v20, v[156:157] offset:28288                  // 000000009ED4: D89A6E80 00009C14
	ds_write_b64 v20, v[160:161] offset:32640                  // 000000009EDC: D89A7F80 0000A014
	ds_write_b64 v20, v[164:165] offset:36992                  // 000000009EE4: D89A9080 0000A414
	ds_write_b64 v20, v[168:169] offset:41344                  // 000000009EEC: D89AA180 0000A814
	v_lshrrev_b32_e32 v4, 5, v0                                // 000000009EF4: 20080085
	v_xor_b32_e32 v5, 1, v4                                    // 000000009EF8: 2A0A0881
	s_mul_i32 s60, s65, 2                                      // 000000009EFC: 923C8241
	s_cmp_eq_u32 s88, 0                                        // 000000009F00: BF068058
	s_cselect_b32 s61, 1, 4                                    // 000000009F04: 853D8481
	s_mul_i32 s60, s61, s60                                    // 000000009F08: 923C3C3D
	v_readlane_b32 s82, v3, 0                                  // 000000009F0C: D2890052 00010103
	s_lshr_b32 s61, s82, 24                                    // 000000009F14: 8F3D9852
	s_and_b32 s82, s82, 0xffffff                               // 000000009F18: 8652FF52 00FFFFFF
	s_mul_i32 s82, s82, s71                                    // 000000009F20: 92524752
	s_mul_i32 s61, s60, s61                                    // 000000009F24: 923D3D3C
	s_add_u32 s82, s82, s61                                    // 000000009F28: 80523D52
	v_mul_lo_u32 v6, v5, s82                                   // 000000009F2C: D2850006 0000A505
	v_readlane_b32 s82, v3, 1                                  // 000000009F34: D2890052 00010303
	s_lshr_b32 s61, s82, 24                                    // 000000009F3C: 8F3D9852
	s_and_b32 s82, s82, 0xffffff                               // 000000009F40: 8652FF52 00FFFFFF
	s_mul_i32 s82, s82, s71                                    // 000000009F48: 92524752
	s_mul_i32 s61, s60, s61                                    // 000000009F4C: 923D3D3C
	s_add_u32 s82, s82, s61                                    // 000000009F50: 80523D52
	v_mul_lo_u32 v7, v4, s82                                   // 000000009F54: D2850007 0000A504
	v_add_u32_e32 v70, v6, v7                                  // 000000009F5C: 688C0F06
	v_readlane_b32 s82, v3, 2                                  // 000000009F60: D2890052 00010503
	s_lshr_b32 s61, s82, 24                                    // 000000009F68: 8F3D9852
	s_and_b32 s82, s82, 0xffffff                               // 000000009F6C: 8652FF52 00FFFFFF
	s_mul_i32 s82, s82, s71                                    // 000000009F74: 92524752
	s_mul_i32 s61, s60, s61                                    // 000000009F78: 923D3D3C
	s_add_u32 s82, s82, s61                                    // 000000009F7C: 80523D52
	v_mul_lo_u32 v6, v5, s82                                   // 000000009F80: D2850006 0000A505
	v_readlane_b32 s82, v3, 3                                  // 000000009F88: D2890052 00010703
	s_lshr_b32 s61, s82, 24                                    // 000000009F90: 8F3D9852
	s_and_b32 s82, s82, 0xffffff                               // 000000009F94: 8652FF52 00FFFFFF
	s_mul_i32 s82, s82, s71                                    // 000000009F9C: 92524752
	s_mul_i32 s61, s60, s61                                    // 000000009FA0: 923D3D3C
	s_add_u32 s82, s82, s61                                    // 000000009FA4: 80523D52
	v_mul_lo_u32 v7, v4, s82                                   // 000000009FA8: D2850007 0000A504
	v_add_u32_e32 v71, v6, v7                                  // 000000009FB0: 688E0F06
	v_readlane_b32 s82, v3, 4                                  // 000000009FB4: D2890052 00010903
	s_lshr_b32 s61, s82, 24                                    // 000000009FBC: 8F3D9852
	s_and_b32 s82, s82, 0xffffff                               // 000000009FC0: 8652FF52 00FFFFFF
	s_mul_i32 s82, s82, s71                                    // 000000009FC8: 92524752
	s_mul_i32 s61, s60, s61                                    // 000000009FCC: 923D3D3C
	s_add_u32 s82, s82, s61                                    // 000000009FD0: 80523D52
	v_mul_lo_u32 v6, v5, s82                                   // 000000009FD4: D2850006 0000A505
	v_readlane_b32 s82, v3, 5                                  // 000000009FDC: D2890052 00010B03
	s_lshr_b32 s61, s82, 24                                    // 000000009FE4: 8F3D9852
	s_and_b32 s82, s82, 0xffffff                               // 000000009FE8: 8652FF52 00FFFFFF
	s_mul_i32 s82, s82, s71                                    // 000000009FF0: 92524752
	s_mul_i32 s61, s60, s61                                    // 000000009FF4: 923D3D3C
	s_add_u32 s82, s82, s61                                    // 000000009FF8: 80523D52
	v_mul_lo_u32 v7, v4, s82                                   // 000000009FFC: D2850007 0000A504
	v_add_u32_e32 v72, v6, v7                                  // 00000000A004: 68900F06
	v_readlane_b32 s82, v3, 6                                  // 00000000A008: D2890052 00010D03
	s_lshr_b32 s61, s82, 24                                    // 00000000A010: 8F3D9852
	s_and_b32 s82, s82, 0xffffff                               // 00000000A014: 8652FF52 00FFFFFF
	s_mul_i32 s82, s82, s71                                    // 00000000A01C: 92524752
	s_mul_i32 s61, s60, s61                                    // 00000000A020: 923D3D3C
	s_add_u32 s82, s82, s61                                    // 00000000A024: 80523D52
	v_mul_lo_u32 v6, v5, s82                                   // 00000000A028: D2850006 0000A505
	v_readlane_b32 s82, v3, 7                                  // 00000000A030: D2890052 00010F03
	s_lshr_b32 s61, s82, 24                                    // 00000000A038: 8F3D9852
	s_and_b32 s82, s82, 0xffffff                               // 00000000A03C: 8652FF52 00FFFFFF
	s_mul_i32 s82, s82, s71                                    // 00000000A044: 92524752
	s_mul_i32 s61, s60, s61                                    // 00000000A048: 923D3D3C
	s_add_u32 s82, s82, s61                                    // 00000000A04C: 80523D52
	v_mul_lo_u32 v7, v4, s82                                   // 00000000A050: D2850007 0000A504
	v_add_u32_e32 v73, v6, v7                                  // 00000000A058: 68920F06
	v_readlane_b32 s82, v3, 8                                  // 00000000A05C: D2890052 00011103
	s_lshr_b32 s61, s82, 24                                    // 00000000A064: 8F3D9852
	s_and_b32 s82, s82, 0xffffff                               // 00000000A068: 8652FF52 00FFFFFF
	s_mul_i32 s82, s82, s71                                    // 00000000A070: 92524752
	s_mul_i32 s61, s60, s61                                    // 00000000A074: 923D3D3C
	s_add_u32 s82, s82, s61                                    // 00000000A078: 80523D52
	v_mul_lo_u32 v6, v5, s82                                   // 00000000A07C: D2850006 0000A505
	v_readlane_b32 s82, v3, 9                                  // 00000000A084: D2890052 00011303
	s_lshr_b32 s61, s82, 24                                    // 00000000A08C: 8F3D9852
	s_and_b32 s82, s82, 0xffffff                               // 00000000A090: 8652FF52 00FFFFFF
	s_mul_i32 s82, s82, s71                                    // 00000000A098: 92524752
	s_mul_i32 s61, s60, s61                                    // 00000000A09C: 923D3D3C
	s_add_u32 s82, s82, s61                                    // 00000000A0A0: 80523D52
	v_mul_lo_u32 v7, v4, s82                                   // 00000000A0A4: D2850007 0000A504
	v_add_u32_e32 v74, v6, v7                                  // 00000000A0AC: 68940F06
	v_readlane_b32 s82, v3, 10                                 // 00000000A0B0: D2890052 00011503
	s_lshr_b32 s61, s82, 24                                    // 00000000A0B8: 8F3D9852
	s_and_b32 s82, s82, 0xffffff                               // 00000000A0BC: 8652FF52 00FFFFFF
	s_mul_i32 s82, s82, s71                                    // 00000000A0C4: 92524752
	s_mul_i32 s61, s60, s61                                    // 00000000A0C8: 923D3D3C
	s_add_u32 s82, s82, s61                                    // 00000000A0CC: 80523D52
	v_mul_lo_u32 v6, v5, s82                                   // 00000000A0D0: D2850006 0000A505
	v_readlane_b32 s82, v3, 11                                 // 00000000A0D8: D2890052 00011703
	s_lshr_b32 s61, s82, 24                                    // 00000000A0E0: 8F3D9852
	s_and_b32 s82, s82, 0xffffff                               // 00000000A0E4: 8652FF52 00FFFFFF
	s_mul_i32 s82, s82, s71                                    // 00000000A0EC: 92524752
	s_mul_i32 s61, s60, s61                                    // 00000000A0F0: 923D3D3C
	s_add_u32 s82, s82, s61                                    // 00000000A0F4: 80523D52
	v_mul_lo_u32 v7, v4, s82                                   // 00000000A0F8: D2850007 0000A504
	v_add_u32_e32 v75, v6, v7                                  // 00000000A100: 68960F06
	v_readlane_b32 s82, v3, 12                                 // 00000000A104: D2890052 00011903
	s_lshr_b32 s61, s82, 24                                    // 00000000A10C: 8F3D9852
	s_and_b32 s82, s82, 0xffffff                               // 00000000A110: 8652FF52 00FFFFFF
	s_mul_i32 s82, s82, s71                                    // 00000000A118: 92524752
	s_mul_i32 s61, s60, s61                                    // 00000000A11C: 923D3D3C
	s_add_u32 s82, s82, s61                                    // 00000000A120: 80523D52
	v_mul_lo_u32 v6, v5, s82                                   // 00000000A124: D2850006 0000A505
	v_readlane_b32 s82, v3, 13                                 // 00000000A12C: D2890052 00011B03
	s_lshr_b32 s61, s82, 24                                    // 00000000A134: 8F3D9852
	s_and_b32 s82, s82, 0xffffff                               // 00000000A138: 8652FF52 00FFFFFF
	s_mul_i32 s82, s82, s71                                    // 00000000A140: 92524752
	s_mul_i32 s61, s60, s61                                    // 00000000A144: 923D3D3C
	s_add_u32 s82, s82, s61                                    // 00000000A148: 80523D52
	v_mul_lo_u32 v7, v4, s82                                   // 00000000A14C: D2850007 0000A504
	v_add_u32_e32 v76, v6, v7                                  // 00000000A154: 68980F06
	v_readlane_b32 s82, v3, 14                                 // 00000000A158: D2890052 00011D03
	s_lshr_b32 s61, s82, 24                                    // 00000000A160: 8F3D9852
	s_and_b32 s82, s82, 0xffffff                               // 00000000A164: 8652FF52 00FFFFFF
	s_mul_i32 s82, s82, s71                                    // 00000000A16C: 92524752
	s_mul_i32 s61, s60, s61                                    // 00000000A170: 923D3D3C
	s_add_u32 s82, s82, s61                                    // 00000000A174: 80523D52
	v_mul_lo_u32 v6, v5, s82                                   // 00000000A178: D2850006 0000A505
	v_readlane_b32 s82, v3, 15                                 // 00000000A180: D2890052 00011F03
	s_lshr_b32 s61, s82, 24                                    // 00000000A188: 8F3D9852
	s_and_b32 s82, s82, 0xffffff                               // 00000000A18C: 8652FF52 00FFFFFF
	s_mul_i32 s82, s82, s71                                    // 00000000A194: 92524752
	s_mul_i32 s61, s60, s61                                    // 00000000A198: 923D3D3C
	s_add_u32 s82, s82, s61                                    // 00000000A19C: 80523D52
	v_mul_lo_u32 v7, v4, s82                                   // 00000000A1A0: D2850007 0000A504
	v_add_u32_e32 v77, v6, v7                                  // 00000000A1A8: 689A0F06
	v_readlane_b32 s82, v3, 16                                 // 00000000A1AC: D2890052 00012103
	s_lshr_b32 s61, s82, 24                                    // 00000000A1B4: 8F3D9852
	s_and_b32 s82, s82, 0xffffff                               // 00000000A1B8: 8652FF52 00FFFFFF
	s_mul_i32 s82, s82, s71                                    // 00000000A1C0: 92524752
	s_mul_i32 s61, s60, s61                                    // 00000000A1C4: 923D3D3C
	s_add_u32 s82, s82, s61                                    // 00000000A1C8: 80523D52
	v_mul_lo_u32 v6, v5, s82                                   // 00000000A1CC: D2850006 0000A505
	v_readlane_b32 s82, v3, 17                                 // 00000000A1D4: D2890052 00012303
	s_lshr_b32 s61, s82, 24                                    // 00000000A1DC: 8F3D9852
	s_and_b32 s82, s82, 0xffffff                               // 00000000A1E0: 8652FF52 00FFFFFF
	s_mul_i32 s82, s82, s71                                    // 00000000A1E8: 92524752
	s_mul_i32 s61, s60, s61                                    // 00000000A1EC: 923D3D3C
	s_add_u32 s82, s82, s61                                    // 00000000A1F0: 80523D52
	v_mul_lo_u32 v7, v4, s82                                   // 00000000A1F4: D2850007 0000A504
	v_add_u32_e32 v78, v6, v7                                  // 00000000A1FC: 689C0F06
	v_readlane_b32 s82, v3, 18                                 // 00000000A200: D2890052 00012503
	s_lshr_b32 s61, s82, 24                                    // 00000000A208: 8F3D9852
	s_and_b32 s82, s82, 0xffffff                               // 00000000A20C: 8652FF52 00FFFFFF
	s_mul_i32 s82, s82, s71                                    // 00000000A214: 92524752
	s_mul_i32 s61, s60, s61                                    // 00000000A218: 923D3D3C
	s_add_u32 s82, s82, s61                                    // 00000000A21C: 80523D52
	v_mul_lo_u32 v6, v5, s82                                   // 00000000A220: D2850006 0000A505
	v_readlane_b32 s82, v3, 19                                 // 00000000A228: D2890052 00012703
	s_lshr_b32 s61, s82, 24                                    // 00000000A230: 8F3D9852
	s_and_b32 s82, s82, 0xffffff                               // 00000000A234: 8652FF52 00FFFFFF
	s_mul_i32 s82, s82, s71                                    // 00000000A23C: 92524752
	s_mul_i32 s61, s60, s61                                    // 00000000A240: 923D3D3C
	s_add_u32 s82, s82, s61                                    // 00000000A244: 80523D52
	v_mul_lo_u32 v7, v4, s82                                   // 00000000A248: D2850007 0000A504
	v_add_u32_e32 v79, v6, v7                                  // 00000000A250: 689E0F06
	v_readlane_b32 s82, v3, 20                                 // 00000000A254: D2890052 00012903
	s_lshr_b32 s61, s82, 24                                    // 00000000A25C: 8F3D9852
	s_and_b32 s82, s82, 0xffffff                               // 00000000A260: 8652FF52 00FFFFFF
	s_mul_i32 s82, s82, s71                                    // 00000000A268: 92524752
	s_mul_i32 s61, s60, s61                                    // 00000000A26C: 923D3D3C
	s_add_u32 s82, s82, s61                                    // 00000000A270: 80523D52
	v_mul_lo_u32 v6, v5, s82                                   // 00000000A274: D2850006 0000A505
	v_readlane_b32 s82, v3, 21                                 // 00000000A27C: D2890052 00012B03
	s_lshr_b32 s61, s82, 24                                    // 00000000A284: 8F3D9852
	s_and_b32 s82, s82, 0xffffff                               // 00000000A288: 8652FF52 00FFFFFF
	s_mul_i32 s82, s82, s71                                    // 00000000A290: 92524752
	s_mul_i32 s61, s60, s61                                    // 00000000A294: 923D3D3C
	s_add_u32 s82, s82, s61                                    // 00000000A298: 80523D52
	v_mul_lo_u32 v7, v4, s82                                   // 00000000A29C: D2850007 0000A504
	v_add_u32_e32 v80, v6, v7                                  // 00000000A2A4: 68A00F06
	v_readlane_b32 s82, v3, 22                                 // 00000000A2A8: D2890052 00012D03
	s_lshr_b32 s61, s82, 24                                    // 00000000A2B0: 8F3D9852
	s_and_b32 s82, s82, 0xffffff                               // 00000000A2B4: 8652FF52 00FFFFFF
	s_mul_i32 s82, s82, s71                                    // 00000000A2BC: 92524752
	s_mul_i32 s61, s60, s61                                    // 00000000A2C0: 923D3D3C
	s_add_u32 s82, s82, s61                                    // 00000000A2C4: 80523D52
	v_mul_lo_u32 v6, v5, s82                                   // 00000000A2C8: D2850006 0000A505
	v_readlane_b32 s82, v3, 23                                 // 00000000A2D0: D2890052 00012F03
	s_lshr_b32 s61, s82, 24                                    // 00000000A2D8: 8F3D9852
	s_and_b32 s82, s82, 0xffffff                               // 00000000A2DC: 8652FF52 00FFFFFF
	s_mul_i32 s82, s82, s71                                    // 00000000A2E4: 92524752
	s_mul_i32 s61, s60, s61                                    // 00000000A2E8: 923D3D3C
	s_add_u32 s82, s82, s61                                    // 00000000A2EC: 80523D52
	v_mul_lo_u32 v7, v4, s82                                   // 00000000A2F0: D2850007 0000A504
	v_add_u32_e32 v81, v6, v7                                  // 00000000A2F8: 68A20F06
	v_readlane_b32 s82, v3, 24                                 // 00000000A2FC: D2890052 00013103
	s_lshr_b32 s61, s82, 24                                    // 00000000A304: 8F3D9852
	s_and_b32 s82, s82, 0xffffff                               // 00000000A308: 8652FF52 00FFFFFF
	s_mul_i32 s82, s82, s71                                    // 00000000A310: 92524752
	s_mul_i32 s61, s60, s61                                    // 00000000A314: 923D3D3C
	s_add_u32 s82, s82, s61                                    // 00000000A318: 80523D52
	v_mul_lo_u32 v6, v5, s82                                   // 00000000A31C: D2850006 0000A505
	v_readlane_b32 s82, v3, 25                                 // 00000000A324: D2890052 00013303
	s_lshr_b32 s61, s82, 24                                    // 00000000A32C: 8F3D9852
	s_and_b32 s82, s82, 0xffffff                               // 00000000A330: 8652FF52 00FFFFFF
	s_mul_i32 s82, s82, s71                                    // 00000000A338: 92524752
	s_mul_i32 s61, s60, s61                                    // 00000000A33C: 923D3D3C
	s_add_u32 s82, s82, s61                                    // 00000000A340: 80523D52
	v_mul_lo_u32 v7, v4, s82                                   // 00000000A344: D2850007 0000A504
	v_add_u32_e32 v82, v6, v7                                  // 00000000A34C: 68A40F06
	v_readlane_b32 s82, v3, 26                                 // 00000000A350: D2890052 00013503
	s_lshr_b32 s61, s82, 24                                    // 00000000A358: 8F3D9852
	s_and_b32 s82, s82, 0xffffff                               // 00000000A35C: 8652FF52 00FFFFFF
	s_mul_i32 s82, s82, s71                                    // 00000000A364: 92524752
	s_mul_i32 s61, s60, s61                                    // 00000000A368: 923D3D3C
	s_add_u32 s82, s82, s61                                    // 00000000A36C: 80523D52
	v_mul_lo_u32 v6, v5, s82                                   // 00000000A370: D2850006 0000A505
	v_readlane_b32 s82, v3, 27                                 // 00000000A378: D2890052 00013703
	s_lshr_b32 s61, s82, 24                                    // 00000000A380: 8F3D9852
	s_and_b32 s82, s82, 0xffffff                               // 00000000A384: 8652FF52 00FFFFFF
	s_mul_i32 s82, s82, s71                                    // 00000000A38C: 92524752
	s_mul_i32 s61, s60, s61                                    // 00000000A390: 923D3D3C
	s_add_u32 s82, s82, s61                                    // 00000000A394: 80523D52
	v_mul_lo_u32 v7, v4, s82                                   // 00000000A398: D2850007 0000A504
	v_add_u32_e32 v83, v6, v7                                  // 00000000A3A0: 68A60F06
	v_readlane_b32 s82, v3, 28                                 // 00000000A3A4: D2890052 00013903
	s_lshr_b32 s61, s82, 24                                    // 00000000A3AC: 8F3D9852
	s_and_b32 s82, s82, 0xffffff                               // 00000000A3B0: 8652FF52 00FFFFFF
	s_mul_i32 s82, s82, s71                                    // 00000000A3B8: 92524752
	s_mul_i32 s61, s60, s61                                    // 00000000A3BC: 923D3D3C
	s_add_u32 s82, s82, s61                                    // 00000000A3C0: 80523D52
	v_mul_lo_u32 v6, v5, s82                                   // 00000000A3C4: D2850006 0000A505
	v_readlane_b32 s82, v3, 29                                 // 00000000A3CC: D2890052 00013B03
	s_lshr_b32 s61, s82, 24                                    // 00000000A3D4: 8F3D9852
	s_and_b32 s82, s82, 0xffffff                               // 00000000A3D8: 8652FF52 00FFFFFF
	s_mul_i32 s82, s82, s71                                    // 00000000A3E0: 92524752
	s_mul_i32 s61, s60, s61                                    // 00000000A3E4: 923D3D3C
	s_add_u32 s82, s82, s61                                    // 00000000A3E8: 80523D52
	v_mul_lo_u32 v7, v4, s82                                   // 00000000A3EC: D2850007 0000A504
	v_add_u32_e32 v84, v6, v7                                  // 00000000A3F4: 68A80F06
	v_readlane_b32 s82, v3, 30                                 // 00000000A3F8: D2890052 00013D03
	s_lshr_b32 s61, s82, 24                                    // 00000000A400: 8F3D9852
	s_and_b32 s82, s82, 0xffffff                               // 00000000A404: 8652FF52 00FFFFFF
	s_mul_i32 s82, s82, s71                                    // 00000000A40C: 92524752
	s_mul_i32 s61, s60, s61                                    // 00000000A410: 923D3D3C
	s_add_u32 s82, s82, s61                                    // 00000000A414: 80523D52
	v_mul_lo_u32 v6, v5, s82                                   // 00000000A418: D2850006 0000A505
	v_readlane_b32 s82, v3, 31                                 // 00000000A420: D2890052 00013F03
	s_lshr_b32 s61, s82, 24                                    // 00000000A428: 8F3D9852
	s_and_b32 s82, s82, 0xffffff                               // 00000000A42C: 8652FF52 00FFFFFF
	s_mul_i32 s82, s82, s71                                    // 00000000A434: 92524752
	s_mul_i32 s61, s60, s61                                    // 00000000A438: 923D3D3C
	s_add_u32 s82, s82, s61                                    // 00000000A43C: 80523D52
	v_mul_lo_u32 v7, v4, s82                                   // 00000000A440: D2850007 0000A504
	v_add_u32_e32 v85, v6, v7                                  // 00000000A448: 68AA0F06
	v_readlane_b32 s82, v3, 32                                 // 00000000A44C: D2890052 00014103
	s_lshr_b32 s61, s82, 24                                    // 00000000A454: 8F3D9852
	s_and_b32 s82, s82, 0xffffff                               // 00000000A458: 8652FF52 00FFFFFF
	s_mul_i32 s82, s82, s71                                    // 00000000A460: 92524752
	s_mul_i32 s61, s60, s61                                    // 00000000A464: 923D3D3C
	s_add_u32 s82, s82, s61                                    // 00000000A468: 80523D52
	v_mul_lo_u32 v6, v5, s82                                   // 00000000A46C: D2850006 0000A505
	v_readlane_b32 s82, v3, 33                                 // 00000000A474: D2890052 00014303
	s_lshr_b32 s61, s82, 24                                    // 00000000A47C: 8F3D9852
	s_and_b32 s82, s82, 0xffffff                               // 00000000A480: 8652FF52 00FFFFFF
	s_mul_i32 s82, s82, s71                                    // 00000000A488: 92524752
	s_mul_i32 s61, s60, s61                                    // 00000000A48C: 923D3D3C
	s_add_u32 s82, s82, s61                                    // 00000000A490: 80523D52
	v_mul_lo_u32 v7, v4, s82                                   // 00000000A494: D2850007 0000A504
	v_add_u32_e32 v86, v6, v7                                  // 00000000A49C: 68AC0F06
	v_readlane_b32 s82, v3, 34                                 // 00000000A4A0: D2890052 00014503
	s_lshr_b32 s61, s82, 24                                    // 00000000A4A8: 8F3D9852
	s_and_b32 s82, s82, 0xffffff                               // 00000000A4AC: 8652FF52 00FFFFFF
	s_mul_i32 s82, s82, s71                                    // 00000000A4B4: 92524752
	s_mul_i32 s61, s60, s61                                    // 00000000A4B8: 923D3D3C
	s_add_u32 s82, s82, s61                                    // 00000000A4BC: 80523D52
	v_mul_lo_u32 v6, v5, s82                                   // 00000000A4C0: D2850006 0000A505
	v_readlane_b32 s82, v3, 35                                 // 00000000A4C8: D2890052 00014703
	s_lshr_b32 s61, s82, 24                                    // 00000000A4D0: 8F3D9852
	s_and_b32 s82, s82, 0xffffff                               // 00000000A4D4: 8652FF52 00FFFFFF
	s_mul_i32 s82, s82, s71                                    // 00000000A4DC: 92524752
	s_mul_i32 s61, s60, s61                                    // 00000000A4E0: 923D3D3C
	s_add_u32 s82, s82, s61                                    // 00000000A4E4: 80523D52
	v_mul_lo_u32 v7, v4, s82                                   // 00000000A4E8: D2850007 0000A504
	v_add_u32_e32 v87, v6, v7                                  // 00000000A4F0: 68AE0F06
	v_readlane_b32 s82, v3, 36                                 // 00000000A4F4: D2890052 00014903
	s_lshr_b32 s61, s82, 24                                    // 00000000A4FC: 8F3D9852
	s_and_b32 s82, s82, 0xffffff                               // 00000000A500: 8652FF52 00FFFFFF
	s_mul_i32 s82, s82, s71                                    // 00000000A508: 92524752
	s_mul_i32 s61, s60, s61                                    // 00000000A50C: 923D3D3C
	s_add_u32 s82, s82, s61                                    // 00000000A510: 80523D52
	v_mul_lo_u32 v6, v5, s82                                   // 00000000A514: D2850006 0000A505
	v_readlane_b32 s82, v3, 37                                 // 00000000A51C: D2890052 00014B03
	s_lshr_b32 s61, s82, 24                                    // 00000000A524: 8F3D9852
	s_and_b32 s82, s82, 0xffffff                               // 00000000A528: 8652FF52 00FFFFFF
	s_mul_i32 s82, s82, s71                                    // 00000000A530: 92524752
	s_mul_i32 s61, s60, s61                                    // 00000000A534: 923D3D3C
	s_add_u32 s82, s82, s61                                    // 00000000A538: 80523D52
	v_mul_lo_u32 v7, v4, s82                                   // 00000000A53C: D2850007 0000A504
	v_add_u32_e32 v88, v6, v7                                  // 00000000A544: 68B00F06
	v_readlane_b32 s82, v3, 38                                 // 00000000A548: D2890052 00014D03
	s_lshr_b32 s61, s82, 24                                    // 00000000A550: 8F3D9852
	s_and_b32 s82, s82, 0xffffff                               // 00000000A554: 8652FF52 00FFFFFF
	s_mul_i32 s82, s82, s71                                    // 00000000A55C: 92524752
	s_mul_i32 s61, s60, s61                                    // 00000000A560: 923D3D3C
	s_add_u32 s82, s82, s61                                    // 00000000A564: 80523D52
	v_mul_lo_u32 v6, v5, s82                                   // 00000000A568: D2850006 0000A505
	v_readlane_b32 s82, v3, 39                                 // 00000000A570: D2890052 00014F03
	s_lshr_b32 s61, s82, 24                                    // 00000000A578: 8F3D9852
	s_and_b32 s82, s82, 0xffffff                               // 00000000A57C: 8652FF52 00FFFFFF
	s_mul_i32 s82, s82, s71                                    // 00000000A584: 92524752
	s_mul_i32 s61, s60, s61                                    // 00000000A588: 923D3D3C
	s_add_u32 s82, s82, s61                                    // 00000000A58C: 80523D52
	v_mul_lo_u32 v7, v4, s82                                   // 00000000A590: D2850007 0000A504
	v_add_u32_e32 v89, v6, v7                                  // 00000000A598: 68B20F06
	v_and_b32_e32 v4, 31, v0                                   // 00000000A59C: 2608009F
	v_lshrrev_b32_e32 v4, 1, v4                                // 00000000A5A0: 20080881
	s_cmp_eq_u32 s88, 0                                        // 00000000A5A4: BF068058
	s_cselect_b32 s61, 2, 4                                    // 00000000A5A8: 853D8482
	v_mul_lo_u32 v4, v4, s61                                   // 00000000A5AC: D2850004 00007B04
	v_and_b32_e64 v5, v0, 1                                    // 00000000A5B4: D1130005 00010300
	v_add_u32_e32 v4, v4, v5                                   // 00000000A5BC: 68080B04
	v_lshlrev_b32_e32 v4, 2, v4                                // 00000000A5C0: 24080882
	v_add_u32_e32 v70, v70, v4                                 // 00000000A5C4: 688C0946
	v_add_u32_e32 v71, v71, v4                                 // 00000000A5C8: 688E0947
	v_add_u32_e32 v72, v72, v4                                 // 00000000A5CC: 68900948
	v_add_u32_e32 v73, v73, v4                                 // 00000000A5D0: 68920949
	v_add_u32_e32 v74, v74, v4                                 // 00000000A5D4: 6894094A
	v_add_u32_e32 v75, v75, v4                                 // 00000000A5D8: 6896094B
	v_add_u32_e32 v76, v76, v4                                 // 00000000A5DC: 6898094C
	v_add_u32_e32 v77, v77, v4                                 // 00000000A5E0: 689A094D
	v_add_u32_e32 v78, v78, v4                                 // 00000000A5E4: 689C094E
	v_add_u32_e32 v79, v79, v4                                 // 00000000A5E8: 689E094F
	v_add_u32_e32 v80, v80, v4                                 // 00000000A5EC: 68A00950
	v_add_u32_e32 v81, v81, v4                                 // 00000000A5F0: 68A20951
	v_add_u32_e32 v82, v82, v4                                 // 00000000A5F4: 68A40952
	v_add_u32_e32 v83, v83, v4                                 // 00000000A5F8: 68A60953
	v_add_u32_e32 v84, v84, v4                                 // 00000000A5FC: 68A80954
	v_add_u32_e32 v85, v85, v4                                 // 00000000A600: 68AA0955
	v_add_u32_e32 v86, v86, v4                                 // 00000000A604: 68AC0956
	v_add_u32_e32 v87, v87, v4                                 // 00000000A608: 68AE0957
	v_add_u32_e32 v88, v88, v4                                 // 00000000A60C: 68B00958
	v_add_u32_e32 v89, v89, v4                                 // 00000000A610: 68B20959
	s_waitcnt lgkmcnt(0)                                       // 00000000A614: BF8CC07F
	s_barrier                                                  // 00000000A618: BF8A0000
	ds_read_b32 v92, v21                                       // 00000000A61C: D86C0000 5C000015
	ds_read_b32 v93, v21 offset:64                             // 00000000A624: D86C0040 5D000015
	ds_read_b32 v96, v21 offset:2176                           // 00000000A62C: D86C0880 60000015
	ds_read_b32 v97, v21 offset:2240                           // 00000000A634: D86C08C0 61000015
	ds_read_b32 v100, v21 offset:4352                          // 00000000A63C: D86C1100 64000015
	ds_read_b32 v101, v21 offset:4416                          // 00000000A644: D86C1140 65000015
	ds_read_b32 v104, v21 offset:6528                          // 00000000A64C: D86C1980 68000015
	ds_read_b32 v105, v21 offset:6592                          // 00000000A654: D86C19C0 69000015
	ds_read_b32 v108, v21 offset:8704                          // 00000000A65C: D86C2200 6C000015
	ds_read_b32 v109, v21 offset:8768                          // 00000000A664: D86C2240 6D000015
	ds_read_b32 v112, v21 offset:10880                         // 00000000A66C: D86C2A80 70000015
	ds_read_b32 v113, v21 offset:10944                         // 00000000A674: D86C2AC0 71000015
	ds_read_b32 v116, v21 offset:13056                         // 00000000A67C: D86C3300 74000015
	ds_read_b32 v117, v21 offset:13120                         // 00000000A684: D86C3340 75000015
	ds_read_b32 v120, v21 offset:15232                         // 00000000A68C: D86C3B80 78000015
	ds_read_b32 v121, v21 offset:15296                         // 00000000A694: D86C3BC0 79000015
	ds_read_b32 v124, v21 offset:17408                         // 00000000A69C: D86C4400 7C000015
	ds_read_b32 v125, v21 offset:17472                         // 00000000A6A4: D86C4440 7D000015
	ds_read_b32 v128, v21 offset:19584                         // 00000000A6AC: D86C4C80 80000015
	ds_read_b32 v129, v21 offset:19648                         // 00000000A6B4: D86C4CC0 81000015
	ds_read_b32 v132, v21 offset:21760                         // 00000000A6BC: D86C5500 84000015
	ds_read_b32 v133, v21 offset:21824                         // 00000000A6C4: D86C5540 85000015
	ds_read_b32 v136, v21 offset:23936                         // 00000000A6CC: D86C5D80 88000015
	ds_read_b32 v137, v21 offset:24000                         // 00000000A6D4: D86C5DC0 89000015
	ds_read_b32 v140, v21 offset:26112                         // 00000000A6DC: D86C6600 8C000015
	ds_read_b32 v141, v21 offset:26176                         // 00000000A6E4: D86C6640 8D000015
	ds_read_b32 v144, v21 offset:28288                         // 00000000A6EC: D86C6E80 90000015
	ds_read_b32 v145, v21 offset:28352                         // 00000000A6F4: D86C6EC0 91000015
	ds_read_b32 v148, v21 offset:30464                         // 00000000A6FC: D86C7700 94000015
	ds_read_b32 v149, v21 offset:30528                         // 00000000A704: D86C7740 95000015
	ds_read_b32 v152, v21 offset:32640                         // 00000000A70C: D86C7F80 98000015
	ds_read_b32 v153, v21 offset:32704                         // 00000000A714: D86C7FC0 99000015
	ds_read_b32 v156, v21 offset:34816                         // 00000000A71C: D86C8800 9C000015
	ds_read_b32 v157, v21 offset:34880                         // 00000000A724: D86C8840 9D000015
	ds_read_b32 v160, v21 offset:36992                         // 00000000A72C: D86C9080 A0000015
	ds_read_b32 v161, v21 offset:37056                         // 00000000A734: D86C90C0 A1000015
	ds_read_b32 v164, v21 offset:39168                         // 00000000A73C: D86C9900 A4000015
	ds_read_b32 v165, v21 offset:39232                         // 00000000A744: D86C9940 A5000015
	ds_read_b32 v168, v21 offset:41344                         // 00000000A74C: D86CA180 A8000015
	ds_read_b32 v169, v21 offset:41408                         // 00000000A754: D86CA1C0 A9000015
	s_waitcnt lgkmcnt(0)                                       // 00000000A75C: BF8CC07F
	s_mov_b32 s36, -1                                          // 00000000A760: BEA400C1
	s_mov_b32 s37, -1                                          // 00000000A764: BEA500C1
	v_mov_b32_e32 v7, 0                                        // 00000000A768: 7E0E0280
	s_mov_b64 exec, s[36:37]                                   // 00000000A76C: BEFE0124
	v_mov_b32_e32 v6, v70                                      // 00000000A770: 7E0C0346
	s_mov_b64 s[60:61], 0                                      // 00000000A774: BEBC0180
	v_readlane_b32 s82, v3, 0                                  // 00000000A778: D2890052 00010103
	s_and_b32 s82, s82, 0xffffff                               // 00000000A780: 8652FF52 00FFFFFF
	s_cmp_lt_u32 s82, s66                                      // 00000000A788: BF0A4252
	s_cselect_b32 s20, s36, s60                                // 00000000A78C: 85143C24
	v_readlane_b32 s82, v3, 1                                  // 00000000A790: D2890052 00010303
	s_and_b32 s82, s82, 0xffffff                               // 00000000A798: 8652FF52 00FFFFFF
	s_cmp_lt_u32 s82, s66                                      // 00000000A7A0: BF0A4252
	s_cselect_b32 s21, s36, s60                                // 00000000A7A4: 85153C24
	s_mov_b64 exec, s[20:21]                                   // 00000000A7A8: BEFE0114
	global_atomic_add_f32 v6, v92, s[8:9]                      // 00000000A7AC: DD348000 00085C06
	global_atomic_add_f32 v6, v96, s[8:9] offset:256           // 00000000A7B4: DD348100 00086006
	s_mov_b64 exec, s[36:37]                                   // 00000000A7BC: BEFE0124
	v_mov_b32_e32 v6, v71                                      // 00000000A7C0: 7E0C0347
	s_mov_b64 s[60:61], 0                                      // 00000000A7C4: BEBC0180
	v_readlane_b32 s82, v3, 2                                  // 00000000A7C8: D2890052 00010503
	s_and_b32 s82, s82, 0xffffff                               // 00000000A7D0: 8652FF52 00FFFFFF
	s_cmp_lt_u32 s82, s66                                      // 00000000A7D8: BF0A4252
	s_cselect_b32 s20, s36, s60                                // 00000000A7DC: 85143C24
	v_readlane_b32 s82, v3, 3                                  // 00000000A7E0: D2890052 00010703
	s_and_b32 s82, s82, 0xffffff                               // 00000000A7E8: 8652FF52 00FFFFFF
	s_cmp_lt_u32 s82, s66                                      // 00000000A7F0: BF0A4252
	s_cselect_b32 s21, s36, s60                                // 00000000A7F4: 85153C24
	s_mov_b64 exec, s[20:21]                                   // 00000000A7F8: BEFE0114
	global_atomic_add_f32 v6, v93, s[8:9]                      // 00000000A7FC: DD348000 00085D06
	global_atomic_add_f32 v6, v97, s[8:9] offset:256           // 00000000A804: DD348100 00086106
	s_mov_b64 exec, s[36:37]                                   // 00000000A80C: BEFE0124
	v_mov_b32_e32 v6, v72                                      // 00000000A810: 7E0C0348
	s_mov_b64 s[60:61], 0                                      // 00000000A814: BEBC0180
	v_readlane_b32 s82, v3, 4                                  // 00000000A818: D2890052 00010903
	s_and_b32 s82, s82, 0xffffff                               // 00000000A820: 8652FF52 00FFFFFF
	s_cmp_lt_u32 s82, s66                                      // 00000000A828: BF0A4252
	s_cselect_b32 s20, s36, s60                                // 00000000A82C: 85143C24
	v_readlane_b32 s82, v3, 5                                  // 00000000A830: D2890052 00010B03
	s_and_b32 s82, s82, 0xffffff                               // 00000000A838: 8652FF52 00FFFFFF
	s_cmp_lt_u32 s82, s66                                      // 00000000A840: BF0A4252
	s_cselect_b32 s21, s36, s60                                // 00000000A844: 85153C24
	s_mov_b64 exec, s[20:21]                                   // 00000000A848: BEFE0114
	global_atomic_add_f32 v6, v100, s[8:9]                     // 00000000A84C: DD348000 00086406
	global_atomic_add_f32 v6, v104, s[8:9] offset:256          // 00000000A854: DD348100 00086806
	s_mov_b64 exec, s[36:37]                                   // 00000000A85C: BEFE0124
	v_mov_b32_e32 v6, v73                                      // 00000000A860: 7E0C0349
	s_mov_b64 s[60:61], 0                                      // 00000000A864: BEBC0180
	v_readlane_b32 s82, v3, 6                                  // 00000000A868: D2890052 00010D03
	s_and_b32 s82, s82, 0xffffff                               // 00000000A870: 8652FF52 00FFFFFF
	s_cmp_lt_u32 s82, s66                                      // 00000000A878: BF0A4252
	s_cselect_b32 s20, s36, s60                                // 00000000A87C: 85143C24
	v_readlane_b32 s82, v3, 7                                  // 00000000A880: D2890052 00010F03
	s_and_b32 s82, s82, 0xffffff                               // 00000000A888: 8652FF52 00FFFFFF
	s_cmp_lt_u32 s82, s66                                      // 00000000A890: BF0A4252
	s_cselect_b32 s21, s36, s60                                // 00000000A894: 85153C24
	s_mov_b64 exec, s[20:21]                                   // 00000000A898: BEFE0114
	global_atomic_add_f32 v6, v101, s[8:9]                     // 00000000A89C: DD348000 00086506
	global_atomic_add_f32 v6, v105, s[8:9] offset:256          // 00000000A8A4: DD348100 00086906
	s_mov_b64 exec, s[36:37]                                   // 00000000A8AC: BEFE0124
	v_mov_b32_e32 v6, v74                                      // 00000000A8B0: 7E0C034A
	s_mov_b64 s[60:61], 0                                      // 00000000A8B4: BEBC0180
	v_readlane_b32 s82, v3, 8                                  // 00000000A8B8: D2890052 00011103
	s_and_b32 s82, s82, 0xffffff                               // 00000000A8C0: 8652FF52 00FFFFFF
	s_cmp_lt_u32 s82, s66                                      // 00000000A8C8: BF0A4252
	s_cselect_b32 s20, s36, s60                                // 00000000A8CC: 85143C24
	v_readlane_b32 s82, v3, 9                                  // 00000000A8D0: D2890052 00011303
	s_and_b32 s82, s82, 0xffffff                               // 00000000A8D8: 8652FF52 00FFFFFF
	s_cmp_lt_u32 s82, s66                                      // 00000000A8E0: BF0A4252
	s_cselect_b32 s21, s36, s60                                // 00000000A8E4: 85153C24
	s_mov_b64 exec, s[20:21]                                   // 00000000A8E8: BEFE0114
	global_atomic_add_f32 v6, v108, s[8:9]                     // 00000000A8EC: DD348000 00086C06
	global_atomic_add_f32 v6, v112, s[8:9] offset:256          // 00000000A8F4: DD348100 00087006
	s_mov_b64 exec, s[36:37]                                   // 00000000A8FC: BEFE0124
	v_mov_b32_e32 v6, v75                                      // 00000000A900: 7E0C034B
	s_mov_b64 s[60:61], 0                                      // 00000000A904: BEBC0180
	v_readlane_b32 s82, v3, 10                                 // 00000000A908: D2890052 00011503
	s_and_b32 s82, s82, 0xffffff                               // 00000000A910: 8652FF52 00FFFFFF
	s_cmp_lt_u32 s82, s66                                      // 00000000A918: BF0A4252
	s_cselect_b32 s20, s36, s60                                // 00000000A91C: 85143C24
	v_readlane_b32 s82, v3, 11                                 // 00000000A920: D2890052 00011703
	s_and_b32 s82, s82, 0xffffff                               // 00000000A928: 8652FF52 00FFFFFF
	s_cmp_lt_u32 s82, s66                                      // 00000000A930: BF0A4252
	s_cselect_b32 s21, s36, s60                                // 00000000A934: 85153C24
	s_mov_b64 exec, s[20:21]                                   // 00000000A938: BEFE0114
	global_atomic_add_f32 v6, v109, s[8:9]                     // 00000000A93C: DD348000 00086D06
	global_atomic_add_f32 v6, v113, s[8:9] offset:256          // 00000000A944: DD348100 00087106
	s_mov_b64 exec, s[36:37]                                   // 00000000A94C: BEFE0124
	v_mov_b32_e32 v6, v76                                      // 00000000A950: 7E0C034C
	s_mov_b64 s[60:61], 0                                      // 00000000A954: BEBC0180
	v_readlane_b32 s82, v3, 12                                 // 00000000A958: D2890052 00011903
	s_and_b32 s82, s82, 0xffffff                               // 00000000A960: 8652FF52 00FFFFFF
	s_cmp_lt_u32 s82, s66                                      // 00000000A968: BF0A4252
	s_cselect_b32 s20, s36, s60                                // 00000000A96C: 85143C24
	v_readlane_b32 s82, v3, 13                                 // 00000000A970: D2890052 00011B03
	s_and_b32 s82, s82, 0xffffff                               // 00000000A978: 8652FF52 00FFFFFF
	s_cmp_lt_u32 s82, s66                                      // 00000000A980: BF0A4252
	s_cselect_b32 s21, s36, s60                                // 00000000A984: 85153C24
	s_mov_b64 exec, s[20:21]                                   // 00000000A988: BEFE0114
	global_atomic_add_f32 v6, v116, s[8:9]                     // 00000000A98C: DD348000 00087406
	global_atomic_add_f32 v6, v120, s[8:9] offset:256          // 00000000A994: DD348100 00087806
	s_mov_b64 exec, s[36:37]                                   // 00000000A99C: BEFE0124
	v_mov_b32_e32 v6, v77                                      // 00000000A9A0: 7E0C034D
	s_mov_b64 s[60:61], 0                                      // 00000000A9A4: BEBC0180
	v_readlane_b32 s82, v3, 14                                 // 00000000A9A8: D2890052 00011D03
	s_and_b32 s82, s82, 0xffffff                               // 00000000A9B0: 8652FF52 00FFFFFF
	s_cmp_lt_u32 s82, s66                                      // 00000000A9B8: BF0A4252
	s_cselect_b32 s20, s36, s60                                // 00000000A9BC: 85143C24
	v_readlane_b32 s82, v3, 15                                 // 00000000A9C0: D2890052 00011F03
	s_and_b32 s82, s82, 0xffffff                               // 00000000A9C8: 8652FF52 00FFFFFF
	s_cmp_lt_u32 s82, s66                                      // 00000000A9D0: BF0A4252
	s_cselect_b32 s21, s36, s60                                // 00000000A9D4: 85153C24
	s_mov_b64 exec, s[20:21]                                   // 00000000A9D8: BEFE0114
	global_atomic_add_f32 v6, v117, s[8:9]                     // 00000000A9DC: DD348000 00087506
	global_atomic_add_f32 v6, v121, s[8:9] offset:256          // 00000000A9E4: DD348100 00087906
	s_mov_b64 exec, s[36:37]                                   // 00000000A9EC: BEFE0124
	v_mov_b32_e32 v6, v78                                      // 00000000A9F0: 7E0C034E
	s_mov_b64 s[60:61], 0                                      // 00000000A9F4: BEBC0180
	v_readlane_b32 s82, v3, 16                                 // 00000000A9F8: D2890052 00012103
	s_and_b32 s82, s82, 0xffffff                               // 00000000AA00: 8652FF52 00FFFFFF
	s_cmp_lt_u32 s82, s66                                      // 00000000AA08: BF0A4252
	s_cselect_b32 s20, s36, s60                                // 00000000AA0C: 85143C24
	v_readlane_b32 s82, v3, 17                                 // 00000000AA10: D2890052 00012303
	s_and_b32 s82, s82, 0xffffff                               // 00000000AA18: 8652FF52 00FFFFFF
	s_cmp_lt_u32 s82, s66                                      // 00000000AA20: BF0A4252
	s_cselect_b32 s21, s36, s60                                // 00000000AA24: 85153C24
	s_mov_b64 exec, s[20:21]                                   // 00000000AA28: BEFE0114
	global_atomic_add_f32 v6, v124, s[8:9]                     // 00000000AA2C: DD348000 00087C06
	global_atomic_add_f32 v6, v128, s[8:9] offset:256          // 00000000AA34: DD348100 00088006
	s_mov_b64 exec, s[36:37]                                   // 00000000AA3C: BEFE0124
	v_mov_b32_e32 v6, v79                                      // 00000000AA40: 7E0C034F
	s_mov_b64 s[60:61], 0                                      // 00000000AA44: BEBC0180
	v_readlane_b32 s82, v3, 18                                 // 00000000AA48: D2890052 00012503
	s_and_b32 s82, s82, 0xffffff                               // 00000000AA50: 8652FF52 00FFFFFF
	s_cmp_lt_u32 s82, s66                                      // 00000000AA58: BF0A4252
	s_cselect_b32 s20, s36, s60                                // 00000000AA5C: 85143C24
	v_readlane_b32 s82, v3, 19                                 // 00000000AA60: D2890052 00012703
	s_and_b32 s82, s82, 0xffffff                               // 00000000AA68: 8652FF52 00FFFFFF
	s_cmp_lt_u32 s82, s66                                      // 00000000AA70: BF0A4252
	s_cselect_b32 s21, s36, s60                                // 00000000AA74: 85153C24
	s_mov_b64 exec, s[20:21]                                   // 00000000AA78: BEFE0114
	global_atomic_add_f32 v6, v125, s[8:9]                     // 00000000AA7C: DD348000 00087D06
	global_atomic_add_f32 v6, v129, s[8:9] offset:256          // 00000000AA84: DD348100 00088106
	s_mov_b64 exec, s[36:37]                                   // 00000000AA8C: BEFE0124
	v_mov_b32_e32 v6, v80                                      // 00000000AA90: 7E0C0350
	s_mov_b64 s[60:61], 0                                      // 00000000AA94: BEBC0180
	v_readlane_b32 s82, v3, 20                                 // 00000000AA98: D2890052 00012903
	s_and_b32 s82, s82, 0xffffff                               // 00000000AAA0: 8652FF52 00FFFFFF
	s_cmp_lt_u32 s82, s66                                      // 00000000AAA8: BF0A4252
	s_cselect_b32 s20, s36, s60                                // 00000000AAAC: 85143C24
	v_readlane_b32 s82, v3, 21                                 // 00000000AAB0: D2890052 00012B03
	s_and_b32 s82, s82, 0xffffff                               // 00000000AAB8: 8652FF52 00FFFFFF
	s_cmp_lt_u32 s82, s66                                      // 00000000AAC0: BF0A4252
	s_cselect_b32 s21, s36, s60                                // 00000000AAC4: 85153C24
	s_mov_b64 exec, s[20:21]                                   // 00000000AAC8: BEFE0114
	global_atomic_add_f32 v6, v132, s[8:9]                     // 00000000AACC: DD348000 00088406
	global_atomic_add_f32 v6, v136, s[8:9] offset:256          // 00000000AAD4: DD348100 00088806
	s_mov_b64 exec, s[36:37]                                   // 00000000AADC: BEFE0124
	v_mov_b32_e32 v6, v81                                      // 00000000AAE0: 7E0C0351
	s_mov_b64 s[60:61], 0                                      // 00000000AAE4: BEBC0180
	v_readlane_b32 s82, v3, 22                                 // 00000000AAE8: D2890052 00012D03
	s_and_b32 s82, s82, 0xffffff                               // 00000000AAF0: 8652FF52 00FFFFFF
	s_cmp_lt_u32 s82, s66                                      // 00000000AAF8: BF0A4252
	s_cselect_b32 s20, s36, s60                                // 00000000AAFC: 85143C24
	v_readlane_b32 s82, v3, 23                                 // 00000000AB00: D2890052 00012F03
	s_and_b32 s82, s82, 0xffffff                               // 00000000AB08: 8652FF52 00FFFFFF
	s_cmp_lt_u32 s82, s66                                      // 00000000AB10: BF0A4252
	s_cselect_b32 s21, s36, s60                                // 00000000AB14: 85153C24
	s_mov_b64 exec, s[20:21]                                   // 00000000AB18: BEFE0114
	global_atomic_add_f32 v6, v133, s[8:9]                     // 00000000AB1C: DD348000 00088506
	global_atomic_add_f32 v6, v137, s[8:9] offset:256          // 00000000AB24: DD348100 00088906
	s_mov_b64 exec, s[36:37]                                   // 00000000AB2C: BEFE0124
	v_mov_b32_e32 v6, v82                                      // 00000000AB30: 7E0C0352
	s_mov_b64 s[60:61], 0                                      // 00000000AB34: BEBC0180
	v_readlane_b32 s82, v3, 24                                 // 00000000AB38: D2890052 00013103
	s_and_b32 s82, s82, 0xffffff                               // 00000000AB40: 8652FF52 00FFFFFF
	s_cmp_lt_u32 s82, s66                                      // 00000000AB48: BF0A4252
	s_cselect_b32 s20, s36, s60                                // 00000000AB4C: 85143C24
	v_readlane_b32 s82, v3, 25                                 // 00000000AB50: D2890052 00013303
	s_and_b32 s82, s82, 0xffffff                               // 00000000AB58: 8652FF52 00FFFFFF
	s_cmp_lt_u32 s82, s66                                      // 00000000AB60: BF0A4252
	s_cselect_b32 s21, s36, s60                                // 00000000AB64: 85153C24
	s_mov_b64 exec, s[20:21]                                   // 00000000AB68: BEFE0114
	global_atomic_add_f32 v6, v140, s[8:9]                     // 00000000AB6C: DD348000 00088C06
	global_atomic_add_f32 v6, v144, s[8:9] offset:256          // 00000000AB74: DD348100 00089006
	s_mov_b64 exec, s[36:37]                                   // 00000000AB7C: BEFE0124
	v_mov_b32_e32 v6, v83                                      // 00000000AB80: 7E0C0353
	s_mov_b64 s[60:61], 0                                      // 00000000AB84: BEBC0180
	v_readlane_b32 s82, v3, 26                                 // 00000000AB88: D2890052 00013503
	s_and_b32 s82, s82, 0xffffff                               // 00000000AB90: 8652FF52 00FFFFFF
	s_cmp_lt_u32 s82, s66                                      // 00000000AB98: BF0A4252
	s_cselect_b32 s20, s36, s60                                // 00000000AB9C: 85143C24
	v_readlane_b32 s82, v3, 27                                 // 00000000ABA0: D2890052 00013703
	s_and_b32 s82, s82, 0xffffff                               // 00000000ABA8: 8652FF52 00FFFFFF
	s_cmp_lt_u32 s82, s66                                      // 00000000ABB0: BF0A4252
	s_cselect_b32 s21, s36, s60                                // 00000000ABB4: 85153C24
	s_mov_b64 exec, s[20:21]                                   // 00000000ABB8: BEFE0114
	global_atomic_add_f32 v6, v141, s[8:9]                     // 00000000ABBC: DD348000 00088D06
	global_atomic_add_f32 v6, v145, s[8:9] offset:256          // 00000000ABC4: DD348100 00089106
	s_mov_b64 exec, s[36:37]                                   // 00000000ABCC: BEFE0124
	v_mov_b32_e32 v6, v84                                      // 00000000ABD0: 7E0C0354
	s_mov_b64 s[60:61], 0                                      // 00000000ABD4: BEBC0180
	v_readlane_b32 s82, v3, 28                                 // 00000000ABD8: D2890052 00013903
	s_and_b32 s82, s82, 0xffffff                               // 00000000ABE0: 8652FF52 00FFFFFF
	s_cmp_lt_u32 s82, s66                                      // 00000000ABE8: BF0A4252
	s_cselect_b32 s20, s36, s60                                // 00000000ABEC: 85143C24
	v_readlane_b32 s82, v3, 29                                 // 00000000ABF0: D2890052 00013B03
	s_and_b32 s82, s82, 0xffffff                               // 00000000ABF8: 8652FF52 00FFFFFF
	s_cmp_lt_u32 s82, s66                                      // 00000000AC00: BF0A4252
	s_cselect_b32 s21, s36, s60                                // 00000000AC04: 85153C24
	s_mov_b64 exec, s[20:21]                                   // 00000000AC08: BEFE0114
	global_atomic_add_f32 v6, v148, s[8:9]                     // 00000000AC0C: DD348000 00089406
	global_atomic_add_f32 v6, v152, s[8:9] offset:256          // 00000000AC14: DD348100 00089806
	s_mov_b64 exec, s[36:37]                                   // 00000000AC1C: BEFE0124
	v_mov_b32_e32 v6, v85                                      // 00000000AC20: 7E0C0355
	s_mov_b64 s[60:61], 0                                      // 00000000AC24: BEBC0180
	v_readlane_b32 s82, v3, 30                                 // 00000000AC28: D2890052 00013D03
	s_and_b32 s82, s82, 0xffffff                               // 00000000AC30: 8652FF52 00FFFFFF
	s_cmp_lt_u32 s82, s66                                      // 00000000AC38: BF0A4252
	s_cselect_b32 s20, s36, s60                                // 00000000AC3C: 85143C24
	v_readlane_b32 s82, v3, 31                                 // 00000000AC40: D2890052 00013F03
	s_and_b32 s82, s82, 0xffffff                               // 00000000AC48: 8652FF52 00FFFFFF
	s_cmp_lt_u32 s82, s66                                      // 00000000AC50: BF0A4252
	s_cselect_b32 s21, s36, s60                                // 00000000AC54: 85153C24
	s_mov_b64 exec, s[20:21]                                   // 00000000AC58: BEFE0114
	global_atomic_add_f32 v6, v149, s[8:9]                     // 00000000AC5C: DD348000 00089506
	global_atomic_add_f32 v6, v153, s[8:9] offset:256          // 00000000AC64: DD348100 00089906
	s_mov_b64 exec, s[36:37]                                   // 00000000AC6C: BEFE0124
	v_mov_b32_e32 v6, v86                                      // 00000000AC70: 7E0C0356
	s_mov_b64 s[60:61], 0                                      // 00000000AC74: BEBC0180
	v_readlane_b32 s82, v3, 32                                 // 00000000AC78: D2890052 00014103
	s_and_b32 s82, s82, 0xffffff                               // 00000000AC80: 8652FF52 00FFFFFF
	s_cmp_lt_u32 s82, s66                                      // 00000000AC88: BF0A4252
	s_cselect_b32 s20, s36, s60                                // 00000000AC8C: 85143C24
	v_readlane_b32 s82, v3, 33                                 // 00000000AC90: D2890052 00014303
	s_and_b32 s82, s82, 0xffffff                               // 00000000AC98: 8652FF52 00FFFFFF
	s_cmp_lt_u32 s82, s66                                      // 00000000ACA0: BF0A4252
	s_cselect_b32 s21, s36, s60                                // 00000000ACA4: 85153C24
	s_mov_b64 exec, s[20:21]                                   // 00000000ACA8: BEFE0114
	global_atomic_add_f32 v6, v156, s[8:9]                     // 00000000ACAC: DD348000 00089C06
	global_atomic_add_f32 v6, v160, s[8:9] offset:256          // 00000000ACB4: DD348100 0008A006
	s_mov_b64 exec, s[36:37]                                   // 00000000ACBC: BEFE0124
	v_mov_b32_e32 v6, v87                                      // 00000000ACC0: 7E0C0357
	s_mov_b64 s[60:61], 0                                      // 00000000ACC4: BEBC0180
	v_readlane_b32 s82, v3, 34                                 // 00000000ACC8: D2890052 00014503
	s_and_b32 s82, s82, 0xffffff                               // 00000000ACD0: 8652FF52 00FFFFFF
	s_cmp_lt_u32 s82, s66                                      // 00000000ACD8: BF0A4252
	s_cselect_b32 s20, s36, s60                                // 00000000ACDC: 85143C24
	v_readlane_b32 s82, v3, 35                                 // 00000000ACE0: D2890052 00014703
	s_and_b32 s82, s82, 0xffffff                               // 00000000ACE8: 8652FF52 00FFFFFF
	s_cmp_lt_u32 s82, s66                                      // 00000000ACF0: BF0A4252
	s_cselect_b32 s21, s36, s60                                // 00000000ACF4: 85153C24
	s_mov_b64 exec, s[20:21]                                   // 00000000ACF8: BEFE0114
	global_atomic_add_f32 v6, v157, s[8:9]                     // 00000000ACFC: DD348000 00089D06
	global_atomic_add_f32 v6, v161, s[8:9] offset:256          // 00000000AD04: DD348100 0008A106
	s_mov_b64 exec, s[36:37]                                   // 00000000AD0C: BEFE0124
	v_mov_b32_e32 v6, v88                                      // 00000000AD10: 7E0C0358
	s_mov_b64 s[60:61], 0                                      // 00000000AD14: BEBC0180
	v_readlane_b32 s82, v3, 36                                 // 00000000AD18: D2890052 00014903
	s_and_b32 s82, s82, 0xffffff                               // 00000000AD20: 8652FF52 00FFFFFF
	s_cmp_lt_u32 s82, s66                                      // 00000000AD28: BF0A4252
	s_cselect_b32 s20, s36, s60                                // 00000000AD2C: 85143C24
	v_readlane_b32 s82, v3, 37                                 // 00000000AD30: D2890052 00014B03
	s_and_b32 s82, s82, 0xffffff                               // 00000000AD38: 8652FF52 00FFFFFF
	s_cmp_lt_u32 s82, s66                                      // 00000000AD40: BF0A4252
	s_cselect_b32 s21, s36, s60                                // 00000000AD44: 85153C24
	s_mov_b64 exec, s[20:21]                                   // 00000000AD48: BEFE0114
	global_atomic_add_f32 v6, v164, s[8:9]                     // 00000000AD4C: DD348000 0008A406
	global_atomic_add_f32 v6, v168, s[8:9] offset:256          // 00000000AD54: DD348100 0008A806
	s_mov_b64 exec, s[36:37]                                   // 00000000AD5C: BEFE0124
	v_mov_b32_e32 v6, v89                                      // 00000000AD60: 7E0C0359
	s_mov_b64 s[60:61], 0                                      // 00000000AD64: BEBC0180
	v_readlane_b32 s82, v3, 38                                 // 00000000AD68: D2890052 00014D03
	s_and_b32 s82, s82, 0xffffff                               // 00000000AD70: 8652FF52 00FFFFFF
	s_cmp_lt_u32 s82, s66                                      // 00000000AD78: BF0A4252
	s_cselect_b32 s20, s36, s60                                // 00000000AD7C: 85143C24
	v_readlane_b32 s82, v3, 39                                 // 00000000AD80: D2890052 00014F03
	s_and_b32 s82, s82, 0xffffff                               // 00000000AD88: 8652FF52 00FFFFFF
	s_cmp_lt_u32 s82, s66                                      // 00000000AD90: BF0A4252
	s_cselect_b32 s21, s36, s60                                // 00000000AD94: 85153C24
	s_mov_b64 exec, s[20:21]                                   // 00000000AD98: BEFE0114
	global_atomic_add_f32 v6, v165, s[8:9]                     // 00000000AD9C: DD348000 0008A506
	global_atomic_add_f32 v6, v169, s[8:9] offset:256          // 00000000ADA4: DD348100 0008A906
	s_mov_b64 exec, s[36:37]                                   // 00000000ADAC: BEFE0124
	ds_write_b64 v20, v[94:95]                                 // 00000000ADB0: D89A0000 00005E14
	ds_write_b64 v20, v[98:99] offset:4352                     // 00000000ADB8: D89A1100 00006214
	ds_write_b64 v20, v[102:103] offset:8704                   // 00000000ADC0: D89A2200 00006614
	ds_write_b64 v20, v[106:107] offset:13056                  // 00000000ADC8: D89A3300 00006A14
	ds_write_b64 v20, v[110:111] offset:17408                  // 00000000ADD0: D89A4400 00006E14
	ds_write_b64 v20, v[114:115] offset:21760                  // 00000000ADD8: D89A5500 00007214
	ds_write_b64 v20, v[118:119] offset:26112                  // 00000000ADE0: D89A6600 00007614
	ds_write_b64 v20, v[122:123] offset:30464                  // 00000000ADE8: D89A7700 00007A14
	ds_write_b64 v20, v[126:127] offset:34816                  // 00000000ADF0: D89A8800 00007E14
	ds_write_b64 v20, v[130:131] offset:39168                  // 00000000ADF8: D89A9900 00008214
	ds_write_b64 v20, v[134:135] offset:2176                   // 00000000AE00: D89A0880 00008614
	ds_write_b64 v20, v[138:139] offset:6528                   // 00000000AE08: D89A1980 00008A14
	ds_write_b64 v20, v[142:143] offset:10880                  // 00000000AE10: D89A2A80 00008E14
	ds_write_b64 v20, v[146:147] offset:15232                  // 00000000AE18: D89A3B80 00009214
	ds_write_b64 v20, v[150:151] offset:19584                  // 00000000AE20: D89A4C80 00009614
	ds_write_b64 v20, v[154:155] offset:23936                  // 00000000AE28: D89A5D80 00009A14
	ds_write_b64 v20, v[158:159] offset:28288                  // 00000000AE30: D89A6E80 00009E14
	ds_write_b64 v20, v[162:163] offset:32640                  // 00000000AE38: D89A7F80 0000A214
	ds_write_b64 v20, v[166:167] offset:36992                  // 00000000AE40: D89A9080 0000A614
	ds_write_b64 v20, v[170:171] offset:41344                  // 00000000AE48: D89AA180 0000AA14
	s_waitcnt lgkmcnt(0)                                       // 00000000AE50: BF8CC07F
	s_barrier                                                  // 00000000AE54: BF8A0000
	ds_read_b32 v94, v21                                       // 00000000AE58: D86C0000 5E000015
	ds_read_b32 v95, v21 offset:64                             // 00000000AE60: D86C0040 5F000015
	ds_read_b32 v98, v21 offset:2176                           // 00000000AE68: D86C0880 62000015
	ds_read_b32 v99, v21 offset:2240                           // 00000000AE70: D86C08C0 63000015
	ds_read_b32 v102, v21 offset:4352                          // 00000000AE78: D86C1100 66000015
	ds_read_b32 v103, v21 offset:4416                          // 00000000AE80: D86C1140 67000015
	ds_read_b32 v106, v21 offset:6528                          // 00000000AE88: D86C1980 6A000015
	ds_read_b32 v107, v21 offset:6592                          // 00000000AE90: D86C19C0 6B000015
	ds_read_b32 v110, v21 offset:8704                          // 00000000AE98: D86C2200 6E000015
	ds_read_b32 v111, v21 offset:8768                          // 00000000AEA0: D86C2240 6F000015
	ds_read_b32 v114, v21 offset:10880                         // 00000000AEA8: D86C2A80 72000015
	ds_read_b32 v115, v21 offset:10944                         // 00000000AEB0: D86C2AC0 73000015
	ds_read_b32 v118, v21 offset:13056                         // 00000000AEB8: D86C3300 76000015
	ds_read_b32 v119, v21 offset:13120                         // 00000000AEC0: D86C3340 77000015
	ds_read_b32 v122, v21 offset:15232                         // 00000000AEC8: D86C3B80 7A000015
	ds_read_b32 v123, v21 offset:15296                         // 00000000AED0: D86C3BC0 7B000015
	ds_read_b32 v126, v21 offset:17408                         // 00000000AED8: D86C4400 7E000015
	ds_read_b32 v127, v21 offset:17472                         // 00000000AEE0: D86C4440 7F000015
	ds_read_b32 v130, v21 offset:19584                         // 00000000AEE8: D86C4C80 82000015
	ds_read_b32 v131, v21 offset:19648                         // 00000000AEF0: D86C4CC0 83000015
	ds_read_b32 v134, v21 offset:21760                         // 00000000AEF8: D86C5500 86000015
	ds_read_b32 v135, v21 offset:21824                         // 00000000AF00: D86C5540 87000015
	ds_read_b32 v138, v21 offset:23936                         // 00000000AF08: D86C5D80 8A000015
	ds_read_b32 v139, v21 offset:24000                         // 00000000AF10: D86C5DC0 8B000015
	ds_read_b32 v142, v21 offset:26112                         // 00000000AF18: D86C6600 8E000015
	ds_read_b32 v143, v21 offset:26176                         // 00000000AF20: D86C6640 8F000015
	ds_read_b32 v146, v21 offset:28288                         // 00000000AF28: D86C6E80 92000015
	ds_read_b32 v147, v21 offset:28352                         // 00000000AF30: D86C6EC0 93000015
	ds_read_b32 v150, v21 offset:30464                         // 00000000AF38: D86C7700 96000015
	ds_read_b32 v151, v21 offset:30528                         // 00000000AF40: D86C7740 97000015
	ds_read_b32 v154, v21 offset:32640                         // 00000000AF48: D86C7F80 9A000015
	ds_read_b32 v155, v21 offset:32704                         // 00000000AF50: D86C7FC0 9B000015
	ds_read_b32 v158, v21 offset:34816                         // 00000000AF58: D86C8800 9E000015
	ds_read_b32 v159, v21 offset:34880                         // 00000000AF60: D86C8840 9F000015
	ds_read_b32 v162, v21 offset:36992                         // 00000000AF68: D86C9080 A2000015
	ds_read_b32 v163, v21 offset:37056                         // 00000000AF70: D86C90C0 A3000015
	ds_read_b32 v166, v21 offset:39168                         // 00000000AF78: D86C9900 A6000015
	ds_read_b32 v167, v21 offset:39232                         // 00000000AF80: D86C9940 A7000015
	ds_read_b32 v170, v21 offset:41344                         // 00000000AF88: D86CA180 AA000015
	ds_read_b32 v171, v21 offset:41408                         // 00000000AF90: D86CA1C0 AB000015
	s_waitcnt lgkmcnt(0)                                       // 00000000AF98: BF8CC07F
	v_mov_b32_e32 v7, 0                                        // 00000000AF9C: 7E0E0280
	s_mov_b64 exec, s[36:37]                                   // 00000000AFA0: BEFE0124
	v_mov_b32_e32 v6, v70                                      // 00000000AFA4: 7E0C0346
	s_mov_b64 s[60:61], 0                                      // 00000000AFA8: BEBC0180
	v_readlane_b32 s82, v3, 0                                  // 00000000AFAC: D2890052 00010103
	s_and_b32 s82, s82, 0xffffff                               // 00000000AFB4: 8652FF52 00FFFFFF
	s_cmp_lt_u32 s82, s66                                      // 00000000AFBC: BF0A4252
	s_cselect_b32 s20, s36, s60                                // 00000000AFC0: 85143C24
	v_readlane_b32 s82, v3, 1                                  // 00000000AFC4: D2890052 00010303
	s_and_b32 s82, s82, 0xffffff                               // 00000000AFCC: 8652FF52 00FFFFFF
	s_cmp_lt_u32 s82, s66                                      // 00000000AFD4: BF0A4252
	s_cselect_b32 s21, s36, s60                                // 00000000AFD8: 85153C24
	s_mov_b64 exec, s[20:21]                                   // 00000000AFDC: BEFE0114
	global_atomic_add_f32 v6, v94, s[8:9] offset:8             // 00000000AFE0: DD348008 00085E06
	global_atomic_add_f32 v6, v98, s[8:9] offset:264           // 00000000AFE8: DD348108 00086206
	s_mov_b64 exec, s[36:37]                                   // 00000000AFF0: BEFE0124
	v_mov_b32_e32 v6, v71                                      // 00000000AFF4: 7E0C0347
	s_mov_b64 s[60:61], 0                                      // 00000000AFF8: BEBC0180
	v_readlane_b32 s82, v3, 2                                  // 00000000AFFC: D2890052 00010503
	s_and_b32 s82, s82, 0xffffff                               // 00000000B004: 8652FF52 00FFFFFF
	s_cmp_lt_u32 s82, s66                                      // 00000000B00C: BF0A4252
	s_cselect_b32 s20, s36, s60                                // 00000000B010: 85143C24
	v_readlane_b32 s82, v3, 3                                  // 00000000B014: D2890052 00010703
	s_and_b32 s82, s82, 0xffffff                               // 00000000B01C: 8652FF52 00FFFFFF
	s_cmp_lt_u32 s82, s66                                      // 00000000B024: BF0A4252
	s_cselect_b32 s21, s36, s60                                // 00000000B028: 85153C24
	s_mov_b64 exec, s[20:21]                                   // 00000000B02C: BEFE0114
	global_atomic_add_f32 v6, v95, s[8:9] offset:8             // 00000000B030: DD348008 00085F06
	global_atomic_add_f32 v6, v99, s[8:9] offset:264           // 00000000B038: DD348108 00086306
	s_mov_b64 exec, s[36:37]                                   // 00000000B040: BEFE0124
	v_mov_b32_e32 v6, v72                                      // 00000000B044: 7E0C0348
	s_mov_b64 s[60:61], 0                                      // 00000000B048: BEBC0180
	v_readlane_b32 s82, v3, 4                                  // 00000000B04C: D2890052 00010903
	s_and_b32 s82, s82, 0xffffff                               // 00000000B054: 8652FF52 00FFFFFF
	s_cmp_lt_u32 s82, s66                                      // 00000000B05C: BF0A4252
	s_cselect_b32 s20, s36, s60                                // 00000000B060: 85143C24
	v_readlane_b32 s82, v3, 5                                  // 00000000B064: D2890052 00010B03
	s_and_b32 s82, s82, 0xffffff                               // 00000000B06C: 8652FF52 00FFFFFF
	s_cmp_lt_u32 s82, s66                                      // 00000000B074: BF0A4252
	s_cselect_b32 s21, s36, s60                                // 00000000B078: 85153C24
	s_mov_b64 exec, s[20:21]                                   // 00000000B07C: BEFE0114
	global_atomic_add_f32 v6, v102, s[8:9] offset:8            // 00000000B080: DD348008 00086606
	global_atomic_add_f32 v6, v106, s[8:9] offset:264          // 00000000B088: DD348108 00086A06
	s_mov_b64 exec, s[36:37]                                   // 00000000B090: BEFE0124
	v_mov_b32_e32 v6, v73                                      // 00000000B094: 7E0C0349
	s_mov_b64 s[60:61], 0                                      // 00000000B098: BEBC0180
	v_readlane_b32 s82, v3, 6                                  // 00000000B09C: D2890052 00010D03
	s_and_b32 s82, s82, 0xffffff                               // 00000000B0A4: 8652FF52 00FFFFFF
	s_cmp_lt_u32 s82, s66                                      // 00000000B0AC: BF0A4252
	s_cselect_b32 s20, s36, s60                                // 00000000B0B0: 85143C24
	v_readlane_b32 s82, v3, 7                                  // 00000000B0B4: D2890052 00010F03
	s_and_b32 s82, s82, 0xffffff                               // 00000000B0BC: 8652FF52 00FFFFFF
	s_cmp_lt_u32 s82, s66                                      // 00000000B0C4: BF0A4252
	s_cselect_b32 s21, s36, s60                                // 00000000B0C8: 85153C24
	s_mov_b64 exec, s[20:21]                                   // 00000000B0CC: BEFE0114
	global_atomic_add_f32 v6, v103, s[8:9] offset:8            // 00000000B0D0: DD348008 00086706
	global_atomic_add_f32 v6, v107, s[8:9] offset:264          // 00000000B0D8: DD348108 00086B06
	s_mov_b64 exec, s[36:37]                                   // 00000000B0E0: BEFE0124
	v_mov_b32_e32 v6, v74                                      // 00000000B0E4: 7E0C034A
	s_mov_b64 s[60:61], 0                                      // 00000000B0E8: BEBC0180
	v_readlane_b32 s82, v3, 8                                  // 00000000B0EC: D2890052 00011103
	s_and_b32 s82, s82, 0xffffff                               // 00000000B0F4: 8652FF52 00FFFFFF
	s_cmp_lt_u32 s82, s66                                      // 00000000B0FC: BF0A4252
	s_cselect_b32 s20, s36, s60                                // 00000000B100: 85143C24
	v_readlane_b32 s82, v3, 9                                  // 00000000B104: D2890052 00011303
	s_and_b32 s82, s82, 0xffffff                               // 00000000B10C: 8652FF52 00FFFFFF
	s_cmp_lt_u32 s82, s66                                      // 00000000B114: BF0A4252
	s_cselect_b32 s21, s36, s60                                // 00000000B118: 85153C24
	s_mov_b64 exec, s[20:21]                                   // 00000000B11C: BEFE0114
	global_atomic_add_f32 v6, v110, s[8:9] offset:8            // 00000000B120: DD348008 00086E06
	global_atomic_add_f32 v6, v114, s[8:9] offset:264          // 00000000B128: DD348108 00087206
	s_mov_b64 exec, s[36:37]                                   // 00000000B130: BEFE0124
	v_mov_b32_e32 v6, v75                                      // 00000000B134: 7E0C034B
	s_mov_b64 s[60:61], 0                                      // 00000000B138: BEBC0180
	v_readlane_b32 s82, v3, 10                                 // 00000000B13C: D2890052 00011503
	s_and_b32 s82, s82, 0xffffff                               // 00000000B144: 8652FF52 00FFFFFF
	s_cmp_lt_u32 s82, s66                                      // 00000000B14C: BF0A4252
	s_cselect_b32 s20, s36, s60                                // 00000000B150: 85143C24
	v_readlane_b32 s82, v3, 11                                 // 00000000B154: D2890052 00011703
	s_and_b32 s82, s82, 0xffffff                               // 00000000B15C: 8652FF52 00FFFFFF
	s_cmp_lt_u32 s82, s66                                      // 00000000B164: BF0A4252
	s_cselect_b32 s21, s36, s60                                // 00000000B168: 85153C24
	s_mov_b64 exec, s[20:21]                                   // 00000000B16C: BEFE0114
	global_atomic_add_f32 v6, v111, s[8:9] offset:8            // 00000000B170: DD348008 00086F06
	global_atomic_add_f32 v6, v115, s[8:9] offset:264          // 00000000B178: DD348108 00087306
	s_mov_b64 exec, s[36:37]                                   // 00000000B180: BEFE0124
	v_mov_b32_e32 v6, v76                                      // 00000000B184: 7E0C034C
	s_mov_b64 s[60:61], 0                                      // 00000000B188: BEBC0180
	v_readlane_b32 s82, v3, 12                                 // 00000000B18C: D2890052 00011903
	s_and_b32 s82, s82, 0xffffff                               // 00000000B194: 8652FF52 00FFFFFF
	s_cmp_lt_u32 s82, s66                                      // 00000000B19C: BF0A4252
	s_cselect_b32 s20, s36, s60                                // 00000000B1A0: 85143C24
	v_readlane_b32 s82, v3, 13                                 // 00000000B1A4: D2890052 00011B03
	s_and_b32 s82, s82, 0xffffff                               // 00000000B1AC: 8652FF52 00FFFFFF
	s_cmp_lt_u32 s82, s66                                      // 00000000B1B4: BF0A4252
	s_cselect_b32 s21, s36, s60                                // 00000000B1B8: 85153C24
	s_mov_b64 exec, s[20:21]                                   // 00000000B1BC: BEFE0114
	global_atomic_add_f32 v6, v118, s[8:9] offset:8            // 00000000B1C0: DD348008 00087606
	global_atomic_add_f32 v6, v122, s[8:9] offset:264          // 00000000B1C8: DD348108 00087A06
	s_mov_b64 exec, s[36:37]                                   // 00000000B1D0: BEFE0124
	v_mov_b32_e32 v6, v77                                      // 00000000B1D4: 7E0C034D
	s_mov_b64 s[60:61], 0                                      // 00000000B1D8: BEBC0180
	v_readlane_b32 s82, v3, 14                                 // 00000000B1DC: D2890052 00011D03
	s_and_b32 s82, s82, 0xffffff                               // 00000000B1E4: 8652FF52 00FFFFFF
	s_cmp_lt_u32 s82, s66                                      // 00000000B1EC: BF0A4252
	s_cselect_b32 s20, s36, s60                                // 00000000B1F0: 85143C24
	v_readlane_b32 s82, v3, 15                                 // 00000000B1F4: D2890052 00011F03
	s_and_b32 s82, s82, 0xffffff                               // 00000000B1FC: 8652FF52 00FFFFFF
	s_cmp_lt_u32 s82, s66                                      // 00000000B204: BF0A4252
	s_cselect_b32 s21, s36, s60                                // 00000000B208: 85153C24
	s_mov_b64 exec, s[20:21]                                   // 00000000B20C: BEFE0114
	global_atomic_add_f32 v6, v119, s[8:9] offset:8            // 00000000B210: DD348008 00087706
	global_atomic_add_f32 v6, v123, s[8:9] offset:264          // 00000000B218: DD348108 00087B06
	s_mov_b64 exec, s[36:37]                                   // 00000000B220: BEFE0124
	v_mov_b32_e32 v6, v78                                      // 00000000B224: 7E0C034E
	s_mov_b64 s[60:61], 0                                      // 00000000B228: BEBC0180
	v_readlane_b32 s82, v3, 16                                 // 00000000B22C: D2890052 00012103
	s_and_b32 s82, s82, 0xffffff                               // 00000000B234: 8652FF52 00FFFFFF
	s_cmp_lt_u32 s82, s66                                      // 00000000B23C: BF0A4252
	s_cselect_b32 s20, s36, s60                                // 00000000B240: 85143C24
	v_readlane_b32 s82, v3, 17                                 // 00000000B244: D2890052 00012303
	s_and_b32 s82, s82, 0xffffff                               // 00000000B24C: 8652FF52 00FFFFFF
	s_cmp_lt_u32 s82, s66                                      // 00000000B254: BF0A4252
	s_cselect_b32 s21, s36, s60                                // 00000000B258: 85153C24
	s_mov_b64 exec, s[20:21]                                   // 00000000B25C: BEFE0114
	global_atomic_add_f32 v6, v126, s[8:9] offset:8            // 00000000B260: DD348008 00087E06
	global_atomic_add_f32 v6, v130, s[8:9] offset:264          // 00000000B268: DD348108 00088206
	s_mov_b64 exec, s[36:37]                                   // 00000000B270: BEFE0124
	v_mov_b32_e32 v6, v79                                      // 00000000B274: 7E0C034F
	s_mov_b64 s[60:61], 0                                      // 00000000B278: BEBC0180
	v_readlane_b32 s82, v3, 18                                 // 00000000B27C: D2890052 00012503
	s_and_b32 s82, s82, 0xffffff                               // 00000000B284: 8652FF52 00FFFFFF
	s_cmp_lt_u32 s82, s66                                      // 00000000B28C: BF0A4252
	s_cselect_b32 s20, s36, s60                                // 00000000B290: 85143C24
	v_readlane_b32 s82, v3, 19                                 // 00000000B294: D2890052 00012703
	s_and_b32 s82, s82, 0xffffff                               // 00000000B29C: 8652FF52 00FFFFFF
	s_cmp_lt_u32 s82, s66                                      // 00000000B2A4: BF0A4252
	s_cselect_b32 s21, s36, s60                                // 00000000B2A8: 85153C24
	s_mov_b64 exec, s[20:21]                                   // 00000000B2AC: BEFE0114
	global_atomic_add_f32 v6, v127, s[8:9] offset:8            // 00000000B2B0: DD348008 00087F06
	global_atomic_add_f32 v6, v131, s[8:9] offset:264          // 00000000B2B8: DD348108 00088306
	s_mov_b64 exec, s[36:37]                                   // 00000000B2C0: BEFE0124
	v_mov_b32_e32 v6, v80                                      // 00000000B2C4: 7E0C0350
	s_mov_b64 s[60:61], 0                                      // 00000000B2C8: BEBC0180
	v_readlane_b32 s82, v3, 20                                 // 00000000B2CC: D2890052 00012903
	s_and_b32 s82, s82, 0xffffff                               // 00000000B2D4: 8652FF52 00FFFFFF
	s_cmp_lt_u32 s82, s66                                      // 00000000B2DC: BF0A4252
	s_cselect_b32 s20, s36, s60                                // 00000000B2E0: 85143C24
	v_readlane_b32 s82, v3, 21                                 // 00000000B2E4: D2890052 00012B03
	s_and_b32 s82, s82, 0xffffff                               // 00000000B2EC: 8652FF52 00FFFFFF
	s_cmp_lt_u32 s82, s66                                      // 00000000B2F4: BF0A4252
	s_cselect_b32 s21, s36, s60                                // 00000000B2F8: 85153C24
	s_mov_b64 exec, s[20:21]                                   // 00000000B2FC: BEFE0114
	global_atomic_add_f32 v6, v134, s[8:9] offset:8            // 00000000B300: DD348008 00088606
	global_atomic_add_f32 v6, v138, s[8:9] offset:264          // 00000000B308: DD348108 00088A06
	s_mov_b64 exec, s[36:37]                                   // 00000000B310: BEFE0124
	v_mov_b32_e32 v6, v81                                      // 00000000B314: 7E0C0351
	s_mov_b64 s[60:61], 0                                      // 00000000B318: BEBC0180
	v_readlane_b32 s82, v3, 22                                 // 00000000B31C: D2890052 00012D03
	s_and_b32 s82, s82, 0xffffff                               // 00000000B324: 8652FF52 00FFFFFF
	s_cmp_lt_u32 s82, s66                                      // 00000000B32C: BF0A4252
	s_cselect_b32 s20, s36, s60                                // 00000000B330: 85143C24
	v_readlane_b32 s82, v3, 23                                 // 00000000B334: D2890052 00012F03
	s_and_b32 s82, s82, 0xffffff                               // 00000000B33C: 8652FF52 00FFFFFF
	s_cmp_lt_u32 s82, s66                                      // 00000000B344: BF0A4252
	s_cselect_b32 s21, s36, s60                                // 00000000B348: 85153C24
	s_mov_b64 exec, s[20:21]                                   // 00000000B34C: BEFE0114
	global_atomic_add_f32 v6, v135, s[8:9] offset:8            // 00000000B350: DD348008 00088706
	global_atomic_add_f32 v6, v139, s[8:9] offset:264          // 00000000B358: DD348108 00088B06
	s_mov_b64 exec, s[36:37]                                   // 00000000B360: BEFE0124
	v_mov_b32_e32 v6, v82                                      // 00000000B364: 7E0C0352
	s_mov_b64 s[60:61], 0                                      // 00000000B368: BEBC0180
	v_readlane_b32 s82, v3, 24                                 // 00000000B36C: D2890052 00013103
	s_and_b32 s82, s82, 0xffffff                               // 00000000B374: 8652FF52 00FFFFFF
	s_cmp_lt_u32 s82, s66                                      // 00000000B37C: BF0A4252
	s_cselect_b32 s20, s36, s60                                // 00000000B380: 85143C24
	v_readlane_b32 s82, v3, 25                                 // 00000000B384: D2890052 00013303
	s_and_b32 s82, s82, 0xffffff                               // 00000000B38C: 8652FF52 00FFFFFF
	s_cmp_lt_u32 s82, s66                                      // 00000000B394: BF0A4252
	s_cselect_b32 s21, s36, s60                                // 00000000B398: 85153C24
	s_mov_b64 exec, s[20:21]                                   // 00000000B39C: BEFE0114
	global_atomic_add_f32 v6, v142, s[8:9] offset:8            // 00000000B3A0: DD348008 00088E06
	global_atomic_add_f32 v6, v146, s[8:9] offset:264          // 00000000B3A8: DD348108 00089206
	s_mov_b64 exec, s[36:37]                                   // 00000000B3B0: BEFE0124
	v_mov_b32_e32 v6, v83                                      // 00000000B3B4: 7E0C0353
	s_mov_b64 s[60:61], 0                                      // 00000000B3B8: BEBC0180
	v_readlane_b32 s82, v3, 26                                 // 00000000B3BC: D2890052 00013503
	s_and_b32 s82, s82, 0xffffff                               // 00000000B3C4: 8652FF52 00FFFFFF
	s_cmp_lt_u32 s82, s66                                      // 00000000B3CC: BF0A4252
	s_cselect_b32 s20, s36, s60                                // 00000000B3D0: 85143C24
	v_readlane_b32 s82, v3, 27                                 // 00000000B3D4: D2890052 00013703
	s_and_b32 s82, s82, 0xffffff                               // 00000000B3DC: 8652FF52 00FFFFFF
	s_cmp_lt_u32 s82, s66                                      // 00000000B3E4: BF0A4252
	s_cselect_b32 s21, s36, s60                                // 00000000B3E8: 85153C24
	s_mov_b64 exec, s[20:21]                                   // 00000000B3EC: BEFE0114
	global_atomic_add_f32 v6, v143, s[8:9] offset:8            // 00000000B3F0: DD348008 00088F06
	global_atomic_add_f32 v6, v147, s[8:9] offset:264          // 00000000B3F8: DD348108 00089306
	s_mov_b64 exec, s[36:37]                                   // 00000000B400: BEFE0124
	v_mov_b32_e32 v6, v84                                      // 00000000B404: 7E0C0354
	s_mov_b64 s[60:61], 0                                      // 00000000B408: BEBC0180
	v_readlane_b32 s82, v3, 28                                 // 00000000B40C: D2890052 00013903
	s_and_b32 s82, s82, 0xffffff                               // 00000000B414: 8652FF52 00FFFFFF
	s_cmp_lt_u32 s82, s66                                      // 00000000B41C: BF0A4252
	s_cselect_b32 s20, s36, s60                                // 00000000B420: 85143C24
	v_readlane_b32 s82, v3, 29                                 // 00000000B424: D2890052 00013B03
	s_and_b32 s82, s82, 0xffffff                               // 00000000B42C: 8652FF52 00FFFFFF
	s_cmp_lt_u32 s82, s66                                      // 00000000B434: BF0A4252
	s_cselect_b32 s21, s36, s60                                // 00000000B438: 85153C24
	s_mov_b64 exec, s[20:21]                                   // 00000000B43C: BEFE0114
	global_atomic_add_f32 v6, v150, s[8:9] offset:8            // 00000000B440: DD348008 00089606
	global_atomic_add_f32 v6, v154, s[8:9] offset:264          // 00000000B448: DD348108 00089A06
	s_mov_b64 exec, s[36:37]                                   // 00000000B450: BEFE0124
	v_mov_b32_e32 v6, v85                                      // 00000000B454: 7E0C0355
	s_mov_b64 s[60:61], 0                                      // 00000000B458: BEBC0180
	v_readlane_b32 s82, v3, 30                                 // 00000000B45C: D2890052 00013D03
	s_and_b32 s82, s82, 0xffffff                               // 00000000B464: 8652FF52 00FFFFFF
	s_cmp_lt_u32 s82, s66                                      // 00000000B46C: BF0A4252
	s_cselect_b32 s20, s36, s60                                // 00000000B470: 85143C24
	v_readlane_b32 s82, v3, 31                                 // 00000000B474: D2890052 00013F03
	s_and_b32 s82, s82, 0xffffff                               // 00000000B47C: 8652FF52 00FFFFFF
	s_cmp_lt_u32 s82, s66                                      // 00000000B484: BF0A4252
	s_cselect_b32 s21, s36, s60                                // 00000000B488: 85153C24
	s_mov_b64 exec, s[20:21]                                   // 00000000B48C: BEFE0114
	global_atomic_add_f32 v6, v151, s[8:9] offset:8            // 00000000B490: DD348008 00089706
	global_atomic_add_f32 v6, v155, s[8:9] offset:264          // 00000000B498: DD348108 00089B06
	s_mov_b64 exec, s[36:37]                                   // 00000000B4A0: BEFE0124
	v_mov_b32_e32 v6, v86                                      // 00000000B4A4: 7E0C0356
	s_mov_b64 s[60:61], 0                                      // 00000000B4A8: BEBC0180
	v_readlane_b32 s82, v3, 32                                 // 00000000B4AC: D2890052 00014103
	s_and_b32 s82, s82, 0xffffff                               // 00000000B4B4: 8652FF52 00FFFFFF
	s_cmp_lt_u32 s82, s66                                      // 00000000B4BC: BF0A4252
	s_cselect_b32 s20, s36, s60                                // 00000000B4C0: 85143C24
	v_readlane_b32 s82, v3, 33                                 // 00000000B4C4: D2890052 00014303
	s_and_b32 s82, s82, 0xffffff                               // 00000000B4CC: 8652FF52 00FFFFFF
	s_cmp_lt_u32 s82, s66                                      // 00000000B4D4: BF0A4252
	s_cselect_b32 s21, s36, s60                                // 00000000B4D8: 85153C24
	s_mov_b64 exec, s[20:21]                                   // 00000000B4DC: BEFE0114
	global_atomic_add_f32 v6, v158, s[8:9] offset:8            // 00000000B4E0: DD348008 00089E06
	global_atomic_add_f32 v6, v162, s[8:9] offset:264          // 00000000B4E8: DD348108 0008A206
	s_mov_b64 exec, s[36:37]                                   // 00000000B4F0: BEFE0124
	v_mov_b32_e32 v6, v87                                      // 00000000B4F4: 7E0C0357
	s_mov_b64 s[60:61], 0                                      // 00000000B4F8: BEBC0180
	v_readlane_b32 s82, v3, 34                                 // 00000000B4FC: D2890052 00014503
	s_and_b32 s82, s82, 0xffffff                               // 00000000B504: 8652FF52 00FFFFFF
	s_cmp_lt_u32 s82, s66                                      // 00000000B50C: BF0A4252
	s_cselect_b32 s20, s36, s60                                // 00000000B510: 85143C24
	v_readlane_b32 s82, v3, 35                                 // 00000000B514: D2890052 00014703
	s_and_b32 s82, s82, 0xffffff                               // 00000000B51C: 8652FF52 00FFFFFF
	s_cmp_lt_u32 s82, s66                                      // 00000000B524: BF0A4252
	s_cselect_b32 s21, s36, s60                                // 00000000B528: 85153C24
	s_mov_b64 exec, s[20:21]                                   // 00000000B52C: BEFE0114
	global_atomic_add_f32 v6, v159, s[8:9] offset:8            // 00000000B530: DD348008 00089F06
	global_atomic_add_f32 v6, v163, s[8:9] offset:264          // 00000000B538: DD348108 0008A306
	s_mov_b64 exec, s[36:37]                                   // 00000000B540: BEFE0124
	v_mov_b32_e32 v6, v88                                      // 00000000B544: 7E0C0358
	s_mov_b64 s[60:61], 0                                      // 00000000B548: BEBC0180
	v_readlane_b32 s82, v3, 36                                 // 00000000B54C: D2890052 00014903
	s_and_b32 s82, s82, 0xffffff                               // 00000000B554: 8652FF52 00FFFFFF
	s_cmp_lt_u32 s82, s66                                      // 00000000B55C: BF0A4252
	s_cselect_b32 s20, s36, s60                                // 00000000B560: 85143C24
	v_readlane_b32 s82, v3, 37                                 // 00000000B564: D2890052 00014B03
	s_and_b32 s82, s82, 0xffffff                               // 00000000B56C: 8652FF52 00FFFFFF
	s_cmp_lt_u32 s82, s66                                      // 00000000B574: BF0A4252
	s_cselect_b32 s21, s36, s60                                // 00000000B578: 85153C24
	s_mov_b64 exec, s[20:21]                                   // 00000000B57C: BEFE0114
	global_atomic_add_f32 v6, v166, s[8:9] offset:8            // 00000000B580: DD348008 0008A606
	global_atomic_add_f32 v6, v170, s[8:9] offset:264          // 00000000B588: DD348108 0008AA06
	s_mov_b64 exec, s[36:37]                                   // 00000000B590: BEFE0124
	v_mov_b32_e32 v6, v89                                      // 00000000B594: 7E0C0359
	s_mov_b64 s[60:61], 0                                      // 00000000B598: BEBC0180
	v_readlane_b32 s82, v3, 38                                 // 00000000B59C: D2890052 00014D03
	s_and_b32 s82, s82, 0xffffff                               // 00000000B5A4: 8652FF52 00FFFFFF
	s_cmp_lt_u32 s82, s66                                      // 00000000B5AC: BF0A4252
	s_cselect_b32 s20, s36, s60                                // 00000000B5B0: 85143C24
	v_readlane_b32 s82, v3, 39                                 // 00000000B5B4: D2890052 00014F03
	s_and_b32 s82, s82, 0xffffff                               // 00000000B5BC: 8652FF52 00FFFFFF
	s_cmp_lt_u32 s82, s66                                      // 00000000B5C4: BF0A4252
	s_cselect_b32 s21, s36, s60                                // 00000000B5C8: 85153C24
	s_mov_b64 exec, s[20:21]                                   // 00000000B5CC: BEFE0114
	global_atomic_add_f32 v6, v167, s[8:9] offset:8            // 00000000B5D0: DD348008 0008A706
	global_atomic_add_f32 v6, v171, s[8:9] offset:264          // 00000000B5D8: DD348108 0008AB06
	s_mov_b64 exec, s[36:37]                                   // 00000000B5E0: BEFE0124
	ds_write_b64 v20, v[172:173]                               // 00000000B5E4: D89A0000 0000AC14
	ds_write_b64 v20, v[176:177] offset:4352                   // 00000000B5EC: D89A1100 0000B014
	ds_write_b64 v20, v[180:181] offset:8704                   // 00000000B5F4: D89A2200 0000B414
	ds_write_b64 v20, v[184:185] offset:13056                  // 00000000B5FC: D89A3300 0000B814
	ds_write_b64 v20, v[188:189] offset:17408                  // 00000000B604: D89A4400 0000BC14
	ds_write_b64 v20, v[192:193] offset:21760                  // 00000000B60C: D89A5500 0000C014
	ds_write_b64 v20, v[196:197] offset:26112                  // 00000000B614: D89A6600 0000C414
	ds_write_b64 v20, v[200:201] offset:30464                  // 00000000B61C: D89A7700 0000C814
	ds_write_b64 v20, v[204:205] offset:34816                  // 00000000B624: D89A8800 0000CC14
	ds_write_b64 v20, v[208:209] offset:39168                  // 00000000B62C: D89A9900 0000D014
	ds_write_b64 v20, v[212:213] offset:2176                   // 00000000B634: D89A0880 0000D414
	ds_write_b64 v20, v[216:217] offset:6528                   // 00000000B63C: D89A1980 0000D814
	ds_write_b64 v20, v[220:221] offset:10880                  // 00000000B644: D89A2A80 0000DC14
	ds_write_b64 v20, v[224:225] offset:15232                  // 00000000B64C: D89A3B80 0000E014
	ds_write_b64 v20, v[228:229] offset:19584                  // 00000000B654: D89A4C80 0000E414
	ds_write_b64 v20, v[232:233] offset:23936                  // 00000000B65C: D89A5D80 0000E814
	ds_write_b64 v20, v[236:237] offset:28288                  // 00000000B664: D89A6E80 0000EC14
	ds_write_b64 v20, v[240:241] offset:32640                  // 00000000B66C: D89A7F80 0000F014
	ds_write_b64 v20, v[244:245] offset:36992                  // 00000000B674: D89A9080 0000F414
	ds_write_b64 v20, v[248:249] offset:41344                  // 00000000B67C: D89AA180 0000F814
	s_waitcnt lgkmcnt(0)                                       // 00000000B684: BF8CC07F
	s_barrier                                                  // 00000000B688: BF8A0000
	ds_read_b32 v172, v21                                      // 00000000B68C: D86C0000 AC000015
	ds_read_b32 v173, v21 offset:64                            // 00000000B694: D86C0040 AD000015
	ds_read_b32 v176, v21 offset:2176                          // 00000000B69C: D86C0880 B0000015
	ds_read_b32 v177, v21 offset:2240                          // 00000000B6A4: D86C08C0 B1000015
	ds_read_b32 v180, v21 offset:4352                          // 00000000B6AC: D86C1100 B4000015
	ds_read_b32 v181, v21 offset:4416                          // 00000000B6B4: D86C1140 B5000015
	ds_read_b32 v184, v21 offset:6528                          // 00000000B6BC: D86C1980 B8000015
	ds_read_b32 v185, v21 offset:6592                          // 00000000B6C4: D86C19C0 B9000015
	ds_read_b32 v188, v21 offset:8704                          // 00000000B6CC: D86C2200 BC000015
	ds_read_b32 v189, v21 offset:8768                          // 00000000B6D4: D86C2240 BD000015
	ds_read_b32 v192, v21 offset:10880                         // 00000000B6DC: D86C2A80 C0000015
	ds_read_b32 v193, v21 offset:10944                         // 00000000B6E4: D86C2AC0 C1000015
	ds_read_b32 v196, v21 offset:13056                         // 00000000B6EC: D86C3300 C4000015
	ds_read_b32 v197, v21 offset:13120                         // 00000000B6F4: D86C3340 C5000015
	ds_read_b32 v200, v21 offset:15232                         // 00000000B6FC: D86C3B80 C8000015
	ds_read_b32 v201, v21 offset:15296                         // 00000000B704: D86C3BC0 C9000015
	ds_read_b32 v204, v21 offset:17408                         // 00000000B70C: D86C4400 CC000015
	ds_read_b32 v205, v21 offset:17472                         // 00000000B714: D86C4440 CD000015
	ds_read_b32 v208, v21 offset:19584                         // 00000000B71C: D86C4C80 D0000015
	ds_read_b32 v209, v21 offset:19648                         // 00000000B724: D86C4CC0 D1000015
	ds_read_b32 v212, v21 offset:21760                         // 00000000B72C: D86C5500 D4000015
	ds_read_b32 v213, v21 offset:21824                         // 00000000B734: D86C5540 D5000015
	ds_read_b32 v216, v21 offset:23936                         // 00000000B73C: D86C5D80 D8000015
	ds_read_b32 v217, v21 offset:24000                         // 00000000B744: D86C5DC0 D9000015
	ds_read_b32 v220, v21 offset:26112                         // 00000000B74C: D86C6600 DC000015
	ds_read_b32 v221, v21 offset:26176                         // 00000000B754: D86C6640 DD000015
	ds_read_b32 v224, v21 offset:28288                         // 00000000B75C: D86C6E80 E0000015
	ds_read_b32 v225, v21 offset:28352                         // 00000000B764: D86C6EC0 E1000015
	ds_read_b32 v228, v21 offset:30464                         // 00000000B76C: D86C7700 E4000015
	ds_read_b32 v229, v21 offset:30528                         // 00000000B774: D86C7740 E5000015
	ds_read_b32 v232, v21 offset:32640                         // 00000000B77C: D86C7F80 E8000015
	ds_read_b32 v233, v21 offset:32704                         // 00000000B784: D86C7FC0 E9000015
	ds_read_b32 v236, v21 offset:34816                         // 00000000B78C: D86C8800 EC000015
	ds_read_b32 v237, v21 offset:34880                         // 00000000B794: D86C8840 ED000015
	ds_read_b32 v240, v21 offset:36992                         // 00000000B79C: D86C9080 F0000015
	ds_read_b32 v241, v21 offset:37056                         // 00000000B7A4: D86C90C0 F1000015
	ds_read_b32 v244, v21 offset:39168                         // 00000000B7AC: D86C9900 F4000015
	ds_read_b32 v245, v21 offset:39232                         // 00000000B7B4: D86C9940 F5000015
	ds_read_b32 v248, v21 offset:41344                         // 00000000B7BC: D86CA180 F8000015
	ds_read_b32 v249, v21 offset:41408                         // 00000000B7C4: D86CA1C0 F9000015
	s_mul_i32 s60, s65, 4                                      // 00000000B7CC: 923C8441
	s_add_u32 s8, s60, s8                                      // 00000000B7D0: 8008083C
	s_addc_u32 s9, 0, s9                                       // 00000000B7D4: 82090980
	s_waitcnt lgkmcnt(0)                                       // 00000000B7D8: BF8CC07F
	v_mov_b32_e32 v7, 0                                        // 00000000B7DC: 7E0E0280
	s_mov_b64 exec, s[36:37]                                   // 00000000B7E0: BEFE0124
	v_mov_b32_e32 v6, v70                                      // 00000000B7E4: 7E0C0346
	s_mov_b64 s[60:61], 0                                      // 00000000B7E8: BEBC0180
	v_readlane_b32 s82, v3, 0                                  // 00000000B7EC: D2890052 00010103
	s_and_b32 s82, s82, 0xffffff                               // 00000000B7F4: 8652FF52 00FFFFFF
	s_cmp_lt_u32 s82, s66                                      // 00000000B7FC: BF0A4252
	s_cselect_b32 s20, s36, s60                                // 00000000B800: 85143C24
	v_readlane_b32 s82, v3, 1                                  // 00000000B804: D2890052 00010303
	s_and_b32 s82, s82, 0xffffff                               // 00000000B80C: 8652FF52 00FFFFFF
	s_cmp_lt_u32 s82, s66                                      // 00000000B814: BF0A4252
	s_cselect_b32 s21, s36, s60                                // 00000000B818: 85153C24
	s_mov_b64 exec, s[20:21]                                   // 00000000B81C: BEFE0114
	global_atomic_add_f32 v6, v172, s[8:9]                     // 00000000B820: DD348000 0008AC06
	global_atomic_add_f32 v6, v176, s[8:9] offset:256          // 00000000B828: DD348100 0008B006
	s_mov_b64 exec, s[36:37]                                   // 00000000B830: BEFE0124
	v_mov_b32_e32 v6, v71                                      // 00000000B834: 7E0C0347
	s_mov_b64 s[60:61], 0                                      // 00000000B838: BEBC0180
	v_readlane_b32 s82, v3, 2                                  // 00000000B83C: D2890052 00010503
	s_and_b32 s82, s82, 0xffffff                               // 00000000B844: 8652FF52 00FFFFFF
	s_cmp_lt_u32 s82, s66                                      // 00000000B84C: BF0A4252
	s_cselect_b32 s20, s36, s60                                // 00000000B850: 85143C24
	v_readlane_b32 s82, v3, 3                                  // 00000000B854: D2890052 00010703
	s_and_b32 s82, s82, 0xffffff                               // 00000000B85C: 8652FF52 00FFFFFF
	s_cmp_lt_u32 s82, s66                                      // 00000000B864: BF0A4252
	s_cselect_b32 s21, s36, s60                                // 00000000B868: 85153C24
	s_mov_b64 exec, s[20:21]                                   // 00000000B86C: BEFE0114
	global_atomic_add_f32 v6, v173, s[8:9]                     // 00000000B870: DD348000 0008AD06
	global_atomic_add_f32 v6, v177, s[8:9] offset:256          // 00000000B878: DD348100 0008B106
	s_mov_b64 exec, s[36:37]                                   // 00000000B880: BEFE0124
	v_mov_b32_e32 v6, v72                                      // 00000000B884: 7E0C0348
	s_mov_b64 s[60:61], 0                                      // 00000000B888: BEBC0180
	v_readlane_b32 s82, v3, 4                                  // 00000000B88C: D2890052 00010903
	s_and_b32 s82, s82, 0xffffff                               // 00000000B894: 8652FF52 00FFFFFF
	s_cmp_lt_u32 s82, s66                                      // 00000000B89C: BF0A4252
	s_cselect_b32 s20, s36, s60                                // 00000000B8A0: 85143C24
	v_readlane_b32 s82, v3, 5                                  // 00000000B8A4: D2890052 00010B03
	s_and_b32 s82, s82, 0xffffff                               // 00000000B8AC: 8652FF52 00FFFFFF
	s_cmp_lt_u32 s82, s66                                      // 00000000B8B4: BF0A4252
	s_cselect_b32 s21, s36, s60                                // 00000000B8B8: 85153C24
	s_mov_b64 exec, s[20:21]                                   // 00000000B8BC: BEFE0114
	global_atomic_add_f32 v6, v180, s[8:9]                     // 00000000B8C0: DD348000 0008B406
	global_atomic_add_f32 v6, v184, s[8:9] offset:256          // 00000000B8C8: DD348100 0008B806
	s_mov_b64 exec, s[36:37]                                   // 00000000B8D0: BEFE0124
	v_mov_b32_e32 v6, v73                                      // 00000000B8D4: 7E0C0349
	s_mov_b64 s[60:61], 0                                      // 00000000B8D8: BEBC0180
	v_readlane_b32 s82, v3, 6                                  // 00000000B8DC: D2890052 00010D03
	s_and_b32 s82, s82, 0xffffff                               // 00000000B8E4: 8652FF52 00FFFFFF
	s_cmp_lt_u32 s82, s66                                      // 00000000B8EC: BF0A4252
	s_cselect_b32 s20, s36, s60                                // 00000000B8F0: 85143C24
	v_readlane_b32 s82, v3, 7                                  // 00000000B8F4: D2890052 00010F03
	s_and_b32 s82, s82, 0xffffff                               // 00000000B8FC: 8652FF52 00FFFFFF
	s_cmp_lt_u32 s82, s66                                      // 00000000B904: BF0A4252
	s_cselect_b32 s21, s36, s60                                // 00000000B908: 85153C24
	s_mov_b64 exec, s[20:21]                                   // 00000000B90C: BEFE0114
	global_atomic_add_f32 v6, v181, s[8:9]                     // 00000000B910: DD348000 0008B506
	global_atomic_add_f32 v6, v185, s[8:9] offset:256          // 00000000B918: DD348100 0008B906
	s_mov_b64 exec, s[36:37]                                   // 00000000B920: BEFE0124
	v_mov_b32_e32 v6, v74                                      // 00000000B924: 7E0C034A
	s_mov_b64 s[60:61], 0                                      // 00000000B928: BEBC0180
	v_readlane_b32 s82, v3, 8                                  // 00000000B92C: D2890052 00011103
	s_and_b32 s82, s82, 0xffffff                               // 00000000B934: 8652FF52 00FFFFFF
	s_cmp_lt_u32 s82, s66                                      // 00000000B93C: BF0A4252
	s_cselect_b32 s20, s36, s60                                // 00000000B940: 85143C24
	v_readlane_b32 s82, v3, 9                                  // 00000000B944: D2890052 00011303
	s_and_b32 s82, s82, 0xffffff                               // 00000000B94C: 8652FF52 00FFFFFF
	s_cmp_lt_u32 s82, s66                                      // 00000000B954: BF0A4252
	s_cselect_b32 s21, s36, s60                                // 00000000B958: 85153C24
	s_mov_b64 exec, s[20:21]                                   // 00000000B95C: BEFE0114
	global_atomic_add_f32 v6, v188, s[8:9]                     // 00000000B960: DD348000 0008BC06
	global_atomic_add_f32 v6, v192, s[8:9] offset:256          // 00000000B968: DD348100 0008C006
	s_mov_b64 exec, s[36:37]                                   // 00000000B970: BEFE0124
	v_mov_b32_e32 v6, v75                                      // 00000000B974: 7E0C034B
	s_mov_b64 s[60:61], 0                                      // 00000000B978: BEBC0180
	v_readlane_b32 s82, v3, 10                                 // 00000000B97C: D2890052 00011503
	s_and_b32 s82, s82, 0xffffff                               // 00000000B984: 8652FF52 00FFFFFF
	s_cmp_lt_u32 s82, s66                                      // 00000000B98C: BF0A4252
	s_cselect_b32 s20, s36, s60                                // 00000000B990: 85143C24
	v_readlane_b32 s82, v3, 11                                 // 00000000B994: D2890052 00011703
	s_and_b32 s82, s82, 0xffffff                               // 00000000B99C: 8652FF52 00FFFFFF
	s_cmp_lt_u32 s82, s66                                      // 00000000B9A4: BF0A4252
	s_cselect_b32 s21, s36, s60                                // 00000000B9A8: 85153C24
	s_mov_b64 exec, s[20:21]                                   // 00000000B9AC: BEFE0114
	global_atomic_add_f32 v6, v189, s[8:9]                     // 00000000B9B0: DD348000 0008BD06
	global_atomic_add_f32 v6, v193, s[8:9] offset:256          // 00000000B9B8: DD348100 0008C106
	s_mov_b64 exec, s[36:37]                                   // 00000000B9C0: BEFE0124
	v_mov_b32_e32 v6, v76                                      // 00000000B9C4: 7E0C034C
	s_mov_b64 s[60:61], 0                                      // 00000000B9C8: BEBC0180
	v_readlane_b32 s82, v3, 12                                 // 00000000B9CC: D2890052 00011903
	s_and_b32 s82, s82, 0xffffff                               // 00000000B9D4: 8652FF52 00FFFFFF
	s_cmp_lt_u32 s82, s66                                      // 00000000B9DC: BF0A4252
	s_cselect_b32 s20, s36, s60                                // 00000000B9E0: 85143C24
	v_readlane_b32 s82, v3, 13                                 // 00000000B9E4: D2890052 00011B03
	s_and_b32 s82, s82, 0xffffff                               // 00000000B9EC: 8652FF52 00FFFFFF
	s_cmp_lt_u32 s82, s66                                      // 00000000B9F4: BF0A4252
	s_cselect_b32 s21, s36, s60                                // 00000000B9F8: 85153C24
	s_mov_b64 exec, s[20:21]                                   // 00000000B9FC: BEFE0114
	global_atomic_add_f32 v6, v196, s[8:9]                     // 00000000BA00: DD348000 0008C406
	global_atomic_add_f32 v6, v200, s[8:9] offset:256          // 00000000BA08: DD348100 0008C806
	s_mov_b64 exec, s[36:37]                                   // 00000000BA10: BEFE0124
	v_mov_b32_e32 v6, v77                                      // 00000000BA14: 7E0C034D
	s_mov_b64 s[60:61], 0                                      // 00000000BA18: BEBC0180
	v_readlane_b32 s82, v3, 14                                 // 00000000BA1C: D2890052 00011D03
	s_and_b32 s82, s82, 0xffffff                               // 00000000BA24: 8652FF52 00FFFFFF
	s_cmp_lt_u32 s82, s66                                      // 00000000BA2C: BF0A4252
	s_cselect_b32 s20, s36, s60                                // 00000000BA30: 85143C24
	v_readlane_b32 s82, v3, 15                                 // 00000000BA34: D2890052 00011F03
	s_and_b32 s82, s82, 0xffffff                               // 00000000BA3C: 8652FF52 00FFFFFF
	s_cmp_lt_u32 s82, s66                                      // 00000000BA44: BF0A4252
	s_cselect_b32 s21, s36, s60                                // 00000000BA48: 85153C24
	s_mov_b64 exec, s[20:21]                                   // 00000000BA4C: BEFE0114
	global_atomic_add_f32 v6, v197, s[8:9]                     // 00000000BA50: DD348000 0008C506
	global_atomic_add_f32 v6, v201, s[8:9] offset:256          // 00000000BA58: DD348100 0008C906
	s_mov_b64 exec, s[36:37]                                   // 00000000BA60: BEFE0124
	v_mov_b32_e32 v6, v78                                      // 00000000BA64: 7E0C034E
	s_mov_b64 s[60:61], 0                                      // 00000000BA68: BEBC0180
	v_readlane_b32 s82, v3, 16                                 // 00000000BA6C: D2890052 00012103
	s_and_b32 s82, s82, 0xffffff                               // 00000000BA74: 8652FF52 00FFFFFF
	s_cmp_lt_u32 s82, s66                                      // 00000000BA7C: BF0A4252
	s_cselect_b32 s20, s36, s60                                // 00000000BA80: 85143C24
	v_readlane_b32 s82, v3, 17                                 // 00000000BA84: D2890052 00012303
	s_and_b32 s82, s82, 0xffffff                               // 00000000BA8C: 8652FF52 00FFFFFF
	s_cmp_lt_u32 s82, s66                                      // 00000000BA94: BF0A4252
	s_cselect_b32 s21, s36, s60                                // 00000000BA98: 85153C24
	s_mov_b64 exec, s[20:21]                                   // 00000000BA9C: BEFE0114
	global_atomic_add_f32 v6, v204, s[8:9]                     // 00000000BAA0: DD348000 0008CC06
	global_atomic_add_f32 v6, v208, s[8:9] offset:256          // 00000000BAA8: DD348100 0008D006
	s_mov_b64 exec, s[36:37]                                   // 00000000BAB0: BEFE0124
	v_mov_b32_e32 v6, v79                                      // 00000000BAB4: 7E0C034F
	s_mov_b64 s[60:61], 0                                      // 00000000BAB8: BEBC0180
	v_readlane_b32 s82, v3, 18                                 // 00000000BABC: D2890052 00012503
	s_and_b32 s82, s82, 0xffffff                               // 00000000BAC4: 8652FF52 00FFFFFF
	s_cmp_lt_u32 s82, s66                                      // 00000000BACC: BF0A4252
	s_cselect_b32 s20, s36, s60                                // 00000000BAD0: 85143C24
	v_readlane_b32 s82, v3, 19                                 // 00000000BAD4: D2890052 00012703
	s_and_b32 s82, s82, 0xffffff                               // 00000000BADC: 8652FF52 00FFFFFF
	s_cmp_lt_u32 s82, s66                                      // 00000000BAE4: BF0A4252
	s_cselect_b32 s21, s36, s60                                // 00000000BAE8: 85153C24
	s_mov_b64 exec, s[20:21]                                   // 00000000BAEC: BEFE0114
	global_atomic_add_f32 v6, v205, s[8:9]                     // 00000000BAF0: DD348000 0008CD06
	global_atomic_add_f32 v6, v209, s[8:9] offset:256          // 00000000BAF8: DD348100 0008D106
	s_mov_b64 exec, s[36:37]                                   // 00000000BB00: BEFE0124
	v_mov_b32_e32 v6, v80                                      // 00000000BB04: 7E0C0350
	s_mov_b64 s[60:61], 0                                      // 00000000BB08: BEBC0180
	v_readlane_b32 s82, v3, 20                                 // 00000000BB0C: D2890052 00012903
	s_and_b32 s82, s82, 0xffffff                               // 00000000BB14: 8652FF52 00FFFFFF
	s_cmp_lt_u32 s82, s66                                      // 00000000BB1C: BF0A4252
	s_cselect_b32 s20, s36, s60                                // 00000000BB20: 85143C24
	v_readlane_b32 s82, v3, 21                                 // 00000000BB24: D2890052 00012B03
	s_and_b32 s82, s82, 0xffffff                               // 00000000BB2C: 8652FF52 00FFFFFF
	s_cmp_lt_u32 s82, s66                                      // 00000000BB34: BF0A4252
	s_cselect_b32 s21, s36, s60                                // 00000000BB38: 85153C24
	s_mov_b64 exec, s[20:21]                                   // 00000000BB3C: BEFE0114
	global_atomic_add_f32 v6, v212, s[8:9]                     // 00000000BB40: DD348000 0008D406
	global_atomic_add_f32 v6, v216, s[8:9] offset:256          // 00000000BB48: DD348100 0008D806
	s_mov_b64 exec, s[36:37]                                   // 00000000BB50: BEFE0124
	v_mov_b32_e32 v6, v81                                      // 00000000BB54: 7E0C0351
	s_mov_b64 s[60:61], 0                                      // 00000000BB58: BEBC0180
	v_readlane_b32 s82, v3, 22                                 // 00000000BB5C: D2890052 00012D03
	s_and_b32 s82, s82, 0xffffff                               // 00000000BB64: 8652FF52 00FFFFFF
	s_cmp_lt_u32 s82, s66                                      // 00000000BB6C: BF0A4252
	s_cselect_b32 s20, s36, s60                                // 00000000BB70: 85143C24
	v_readlane_b32 s82, v3, 23                                 // 00000000BB74: D2890052 00012F03
	s_and_b32 s82, s82, 0xffffff                               // 00000000BB7C: 8652FF52 00FFFFFF
	s_cmp_lt_u32 s82, s66                                      // 00000000BB84: BF0A4252
	s_cselect_b32 s21, s36, s60                                // 00000000BB88: 85153C24
	s_mov_b64 exec, s[20:21]                                   // 00000000BB8C: BEFE0114
	global_atomic_add_f32 v6, v213, s[8:9]                     // 00000000BB90: DD348000 0008D506
	global_atomic_add_f32 v6, v217, s[8:9] offset:256          // 00000000BB98: DD348100 0008D906
	s_mov_b64 exec, s[36:37]                                   // 00000000BBA0: BEFE0124
	v_mov_b32_e32 v6, v82                                      // 00000000BBA4: 7E0C0352
	s_mov_b64 s[60:61], 0                                      // 00000000BBA8: BEBC0180
	v_readlane_b32 s82, v3, 24                                 // 00000000BBAC: D2890052 00013103
	s_and_b32 s82, s82, 0xffffff                               // 00000000BBB4: 8652FF52 00FFFFFF
	s_cmp_lt_u32 s82, s66                                      // 00000000BBBC: BF0A4252
	s_cselect_b32 s20, s36, s60                                // 00000000BBC0: 85143C24
	v_readlane_b32 s82, v3, 25                                 // 00000000BBC4: D2890052 00013303
	s_and_b32 s82, s82, 0xffffff                               // 00000000BBCC: 8652FF52 00FFFFFF
	s_cmp_lt_u32 s82, s66                                      // 00000000BBD4: BF0A4252
	s_cselect_b32 s21, s36, s60                                // 00000000BBD8: 85153C24
	s_mov_b64 exec, s[20:21]                                   // 00000000BBDC: BEFE0114
	global_atomic_add_f32 v6, v220, s[8:9]                     // 00000000BBE0: DD348000 0008DC06
	global_atomic_add_f32 v6, v224, s[8:9] offset:256          // 00000000BBE8: DD348100 0008E006
	s_mov_b64 exec, s[36:37]                                   // 00000000BBF0: BEFE0124
	v_mov_b32_e32 v6, v83                                      // 00000000BBF4: 7E0C0353
	s_mov_b64 s[60:61], 0                                      // 00000000BBF8: BEBC0180
	v_readlane_b32 s82, v3, 26                                 // 00000000BBFC: D2890052 00013503
	s_and_b32 s82, s82, 0xffffff                               // 00000000BC04: 8652FF52 00FFFFFF
	s_cmp_lt_u32 s82, s66                                      // 00000000BC0C: BF0A4252
	s_cselect_b32 s20, s36, s60                                // 00000000BC10: 85143C24
	v_readlane_b32 s82, v3, 27                                 // 00000000BC14: D2890052 00013703
	s_and_b32 s82, s82, 0xffffff                               // 00000000BC1C: 8652FF52 00FFFFFF
	s_cmp_lt_u32 s82, s66                                      // 00000000BC24: BF0A4252
	s_cselect_b32 s21, s36, s60                                // 00000000BC28: 85153C24
	s_mov_b64 exec, s[20:21]                                   // 00000000BC2C: BEFE0114
	global_atomic_add_f32 v6, v221, s[8:9]                     // 00000000BC30: DD348000 0008DD06
	global_atomic_add_f32 v6, v225, s[8:9] offset:256          // 00000000BC38: DD348100 0008E106
	s_mov_b64 exec, s[36:37]                                   // 00000000BC40: BEFE0124
	v_mov_b32_e32 v6, v84                                      // 00000000BC44: 7E0C0354
	s_mov_b64 s[60:61], 0                                      // 00000000BC48: BEBC0180
	v_readlane_b32 s82, v3, 28                                 // 00000000BC4C: D2890052 00013903
	s_and_b32 s82, s82, 0xffffff                               // 00000000BC54: 8652FF52 00FFFFFF
	s_cmp_lt_u32 s82, s66                                      // 00000000BC5C: BF0A4252
	s_cselect_b32 s20, s36, s60                                // 00000000BC60: 85143C24
	v_readlane_b32 s82, v3, 29                                 // 00000000BC64: D2890052 00013B03
	s_and_b32 s82, s82, 0xffffff                               // 00000000BC6C: 8652FF52 00FFFFFF
	s_cmp_lt_u32 s82, s66                                      // 00000000BC74: BF0A4252
	s_cselect_b32 s21, s36, s60                                // 00000000BC78: 85153C24
	s_mov_b64 exec, s[20:21]                                   // 00000000BC7C: BEFE0114
	global_atomic_add_f32 v6, v228, s[8:9]                     // 00000000BC80: DD348000 0008E406
	global_atomic_add_f32 v6, v232, s[8:9] offset:256          // 00000000BC88: DD348100 0008E806
	s_mov_b64 exec, s[36:37]                                   // 00000000BC90: BEFE0124
	v_mov_b32_e32 v6, v85                                      // 00000000BC94: 7E0C0355
	s_mov_b64 s[60:61], 0                                      // 00000000BC98: BEBC0180
	v_readlane_b32 s82, v3, 30                                 // 00000000BC9C: D2890052 00013D03
	s_and_b32 s82, s82, 0xffffff                               // 00000000BCA4: 8652FF52 00FFFFFF
	s_cmp_lt_u32 s82, s66                                      // 00000000BCAC: BF0A4252
	s_cselect_b32 s20, s36, s60                                // 00000000BCB0: 85143C24
	v_readlane_b32 s82, v3, 31                                 // 00000000BCB4: D2890052 00013F03
	s_and_b32 s82, s82, 0xffffff                               // 00000000BCBC: 8652FF52 00FFFFFF
	s_cmp_lt_u32 s82, s66                                      // 00000000BCC4: BF0A4252
	s_cselect_b32 s21, s36, s60                                // 00000000BCC8: 85153C24
	s_mov_b64 exec, s[20:21]                                   // 00000000BCCC: BEFE0114
	global_atomic_add_f32 v6, v229, s[8:9]                     // 00000000BCD0: DD348000 0008E506
	global_atomic_add_f32 v6, v233, s[8:9] offset:256          // 00000000BCD8: DD348100 0008E906
	s_mov_b64 exec, s[36:37]                                   // 00000000BCE0: BEFE0124
	v_mov_b32_e32 v6, v86                                      // 00000000BCE4: 7E0C0356
	s_mov_b64 s[60:61], 0                                      // 00000000BCE8: BEBC0180
	v_readlane_b32 s82, v3, 32                                 // 00000000BCEC: D2890052 00014103
	s_and_b32 s82, s82, 0xffffff                               // 00000000BCF4: 8652FF52 00FFFFFF
	s_cmp_lt_u32 s82, s66                                      // 00000000BCFC: BF0A4252
	s_cselect_b32 s20, s36, s60                                // 00000000BD00: 85143C24
	v_readlane_b32 s82, v3, 33                                 // 00000000BD04: D2890052 00014303
	s_and_b32 s82, s82, 0xffffff                               // 00000000BD0C: 8652FF52 00FFFFFF
	s_cmp_lt_u32 s82, s66                                      // 00000000BD14: BF0A4252
	s_cselect_b32 s21, s36, s60                                // 00000000BD18: 85153C24
	s_mov_b64 exec, s[20:21]                                   // 00000000BD1C: BEFE0114
	global_atomic_add_f32 v6, v236, s[8:9]                     // 00000000BD20: DD348000 0008EC06
	global_atomic_add_f32 v6, v240, s[8:9] offset:256          // 00000000BD28: DD348100 0008F006
	s_mov_b64 exec, s[36:37]                                   // 00000000BD30: BEFE0124
	v_mov_b32_e32 v6, v87                                      // 00000000BD34: 7E0C0357
	s_mov_b64 s[60:61], 0                                      // 00000000BD38: BEBC0180
	v_readlane_b32 s82, v3, 34                                 // 00000000BD3C: D2890052 00014503
	s_and_b32 s82, s82, 0xffffff                               // 00000000BD44: 8652FF52 00FFFFFF
	s_cmp_lt_u32 s82, s66                                      // 00000000BD4C: BF0A4252
	s_cselect_b32 s20, s36, s60                                // 00000000BD50: 85143C24
	v_readlane_b32 s82, v3, 35                                 // 00000000BD54: D2890052 00014703
	s_and_b32 s82, s82, 0xffffff                               // 00000000BD5C: 8652FF52 00FFFFFF
	s_cmp_lt_u32 s82, s66                                      // 00000000BD64: BF0A4252
	s_cselect_b32 s21, s36, s60                                // 00000000BD68: 85153C24
	s_mov_b64 exec, s[20:21]                                   // 00000000BD6C: BEFE0114
	global_atomic_add_f32 v6, v237, s[8:9]                     // 00000000BD70: DD348000 0008ED06
	global_atomic_add_f32 v6, v241, s[8:9] offset:256          // 00000000BD78: DD348100 0008F106
	s_mov_b64 exec, s[36:37]                                   // 00000000BD80: BEFE0124
	v_mov_b32_e32 v6, v88                                      // 00000000BD84: 7E0C0358
	s_mov_b64 s[60:61], 0                                      // 00000000BD88: BEBC0180
	v_readlane_b32 s82, v3, 36                                 // 00000000BD8C: D2890052 00014903
	s_and_b32 s82, s82, 0xffffff                               // 00000000BD94: 8652FF52 00FFFFFF
	s_cmp_lt_u32 s82, s66                                      // 00000000BD9C: BF0A4252
	s_cselect_b32 s20, s36, s60                                // 00000000BDA0: 85143C24
	v_readlane_b32 s82, v3, 37                                 // 00000000BDA4: D2890052 00014B03
	s_and_b32 s82, s82, 0xffffff                               // 00000000BDAC: 8652FF52 00FFFFFF
	s_cmp_lt_u32 s82, s66                                      // 00000000BDB4: BF0A4252
	s_cselect_b32 s21, s36, s60                                // 00000000BDB8: 85153C24
	s_mov_b64 exec, s[20:21]                                   // 00000000BDBC: BEFE0114
	global_atomic_add_f32 v6, v244, s[8:9]                     // 00000000BDC0: DD348000 0008F406
	global_atomic_add_f32 v6, v248, s[8:9] offset:256          // 00000000BDC8: DD348100 0008F806
	s_mov_b64 exec, s[36:37]                                   // 00000000BDD0: BEFE0124
	v_mov_b32_e32 v6, v89                                      // 00000000BDD4: 7E0C0359
	s_mov_b64 s[60:61], 0                                      // 00000000BDD8: BEBC0180
	v_readlane_b32 s82, v3, 38                                 // 00000000BDDC: D2890052 00014D03
	s_and_b32 s82, s82, 0xffffff                               // 00000000BDE4: 8652FF52 00FFFFFF
	s_cmp_lt_u32 s82, s66                                      // 00000000BDEC: BF0A4252
	s_cselect_b32 s20, s36, s60                                // 00000000BDF0: 85143C24
	v_readlane_b32 s82, v3, 39                                 // 00000000BDF4: D2890052 00014F03
	s_and_b32 s82, s82, 0xffffff                               // 00000000BDFC: 8652FF52 00FFFFFF
	s_cmp_lt_u32 s82, s66                                      // 00000000BE04: BF0A4252
	s_cselect_b32 s21, s36, s60                                // 00000000BE08: 85153C24
	s_mov_b64 exec, s[20:21]                                   // 00000000BE0C: BEFE0114
	global_atomic_add_f32 v6, v245, s[8:9]                     // 00000000BE10: DD348000 0008F506
	global_atomic_add_f32 v6, v249, s[8:9] offset:256          // 00000000BE18: DD348100 0008F906
	s_mov_b64 exec, s[36:37]                                   // 00000000BE20: BEFE0124
	ds_write_b64 v20, v[174:175]                               // 00000000BE24: D89A0000 0000AE14
	ds_write_b64 v20, v[178:179] offset:4352                   // 00000000BE2C: D89A1100 0000B214
	ds_write_b64 v20, v[182:183] offset:8704                   // 00000000BE34: D89A2200 0000B614
	ds_write_b64 v20, v[186:187] offset:13056                  // 00000000BE3C: D89A3300 0000BA14
	ds_write_b64 v20, v[190:191] offset:17408                  // 00000000BE44: D89A4400 0000BE14
	ds_write_b64 v20, v[194:195] offset:21760                  // 00000000BE4C: D89A5500 0000C214
	ds_write_b64 v20, v[198:199] offset:26112                  // 00000000BE54: D89A6600 0000C614
	ds_write_b64 v20, v[202:203] offset:30464                  // 00000000BE5C: D89A7700 0000CA14
	ds_write_b64 v20, v[206:207] offset:34816                  // 00000000BE64: D89A8800 0000CE14
	ds_write_b64 v20, v[210:211] offset:39168                  // 00000000BE6C: D89A9900 0000D214
	ds_write_b64 v20, v[214:215] offset:2176                   // 00000000BE74: D89A0880 0000D614
	ds_write_b64 v20, v[218:219] offset:6528                   // 00000000BE7C: D89A1980 0000DA14
	ds_write_b64 v20, v[222:223] offset:10880                  // 00000000BE84: D89A2A80 0000DE14
	ds_write_b64 v20, v[226:227] offset:15232                  // 00000000BE8C: D89A3B80 0000E214
	ds_write_b64 v20, v[230:231] offset:19584                  // 00000000BE94: D89A4C80 0000E614
	ds_write_b64 v20, v[234:235] offset:23936                  // 00000000BE9C: D89A5D80 0000EA14
	ds_write_b64 v20, v[238:239] offset:28288                  // 00000000BEA4: D89A6E80 0000EE14
	ds_write_b64 v20, v[242:243] offset:32640                  // 00000000BEAC: D89A7F80 0000F214
	ds_write_b64 v20, v[246:247] offset:36992                  // 00000000BEB4: D89A9080 0000F614
	ds_write_b64 v20, v[250:251] offset:41344                  // 00000000BEBC: D89AA180 0000FA14
	s_waitcnt lgkmcnt(0)                                       // 00000000BEC4: BF8CC07F
	s_barrier                                                  // 00000000BEC8: BF8A0000
	ds_read_b32 v174, v21                                      // 00000000BECC: D86C0000 AE000015
	ds_read_b32 v175, v21 offset:64                            // 00000000BED4: D86C0040 AF000015
	ds_read_b32 v178, v21 offset:2176                          // 00000000BEDC: D86C0880 B2000015
	ds_read_b32 v179, v21 offset:2240                          // 00000000BEE4: D86C08C0 B3000015
	ds_read_b32 v182, v21 offset:4352                          // 00000000BEEC: D86C1100 B6000015
	ds_read_b32 v183, v21 offset:4416                          // 00000000BEF4: D86C1140 B7000015
	ds_read_b32 v186, v21 offset:6528                          // 00000000BEFC: D86C1980 BA000015
	ds_read_b32 v187, v21 offset:6592                          // 00000000BF04: D86C19C0 BB000015
	ds_read_b32 v190, v21 offset:8704                          // 00000000BF0C: D86C2200 BE000015
	ds_read_b32 v191, v21 offset:8768                          // 00000000BF14: D86C2240 BF000015
	ds_read_b32 v194, v21 offset:10880                         // 00000000BF1C: D86C2A80 C2000015
	ds_read_b32 v195, v21 offset:10944                         // 00000000BF24: D86C2AC0 C3000015
	ds_read_b32 v198, v21 offset:13056                         // 00000000BF2C: D86C3300 C6000015
	ds_read_b32 v199, v21 offset:13120                         // 00000000BF34: D86C3340 C7000015
	ds_read_b32 v202, v21 offset:15232                         // 00000000BF3C: D86C3B80 CA000015
	ds_read_b32 v203, v21 offset:15296                         // 00000000BF44: D86C3BC0 CB000015
	ds_read_b32 v206, v21 offset:17408                         // 00000000BF4C: D86C4400 CE000015
	ds_read_b32 v207, v21 offset:17472                         // 00000000BF54: D86C4440 CF000015
	ds_read_b32 v210, v21 offset:19584                         // 00000000BF5C: D86C4C80 D2000015
	ds_read_b32 v211, v21 offset:19648                         // 00000000BF64: D86C4CC0 D3000015
	ds_read_b32 v214, v21 offset:21760                         // 00000000BF6C: D86C5500 D6000015
	ds_read_b32 v215, v21 offset:21824                         // 00000000BF74: D86C5540 D7000015
	ds_read_b32 v218, v21 offset:23936                         // 00000000BF7C: D86C5D80 DA000015
	ds_read_b32 v219, v21 offset:24000                         // 00000000BF84: D86C5DC0 DB000015
	ds_read_b32 v222, v21 offset:26112                         // 00000000BF8C: D86C6600 DE000015
	ds_read_b32 v223, v21 offset:26176                         // 00000000BF94: D86C6640 DF000015
	ds_read_b32 v226, v21 offset:28288                         // 00000000BF9C: D86C6E80 E2000015
	ds_read_b32 v227, v21 offset:28352                         // 00000000BFA4: D86C6EC0 E3000015
	ds_read_b32 v230, v21 offset:30464                         // 00000000BFAC: D86C7700 E6000015
	ds_read_b32 v231, v21 offset:30528                         // 00000000BFB4: D86C7740 E7000015
	ds_read_b32 v234, v21 offset:32640                         // 00000000BFBC: D86C7F80 EA000015
	ds_read_b32 v235, v21 offset:32704                         // 00000000BFC4: D86C7FC0 EB000015
	ds_read_b32 v238, v21 offset:34816                         // 00000000BFCC: D86C8800 EE000015
	ds_read_b32 v239, v21 offset:34880                         // 00000000BFD4: D86C8840 EF000015
	ds_read_b32 v242, v21 offset:36992                         // 00000000BFDC: D86C9080 F2000015
	ds_read_b32 v243, v21 offset:37056                         // 00000000BFE4: D86C90C0 F3000015
	ds_read_b32 v246, v21 offset:39168                         // 00000000BFEC: D86C9900 F6000015
	ds_read_b32 v247, v21 offset:39232                         // 00000000BFF4: D86C9940 F7000015
	ds_read_b32 v250, v21 offset:41344                         // 00000000BFFC: D86CA180 FA000015
	ds_read_b32 v251, v21 offset:41408                         // 00000000C004: D86CA1C0 FB000015
	s_waitcnt lgkmcnt(0)                                       // 00000000C00C: BF8CC07F
	v_mov_b32_e32 v7, 0                                        // 00000000C010: 7E0E0280
	s_mov_b64 exec, s[36:37]                                   // 00000000C014: BEFE0124
	v_mov_b32_e32 v6, v70                                      // 00000000C018: 7E0C0346
	s_mov_b64 s[60:61], 0                                      // 00000000C01C: BEBC0180
	v_readlane_b32 s82, v3, 0                                  // 00000000C020: D2890052 00010103
	s_and_b32 s82, s82, 0xffffff                               // 00000000C028: 8652FF52 00FFFFFF
	s_cmp_lt_u32 s82, s66                                      // 00000000C030: BF0A4252
	s_cselect_b32 s20, s36, s60                                // 00000000C034: 85143C24
	v_readlane_b32 s82, v3, 1                                  // 00000000C038: D2890052 00010303
	s_and_b32 s82, s82, 0xffffff                               // 00000000C040: 8652FF52 00FFFFFF
	s_cmp_lt_u32 s82, s66                                      // 00000000C048: BF0A4252
	s_cselect_b32 s21, s36, s60                                // 00000000C04C: 85153C24
	s_mov_b64 exec, s[20:21]                                   // 00000000C050: BEFE0114
	global_atomic_add_f32 v6, v174, s[8:9] offset:8            // 00000000C054: DD348008 0008AE06
	global_atomic_add_f32 v6, v178, s[8:9] offset:264          // 00000000C05C: DD348108 0008B206
	s_mov_b64 exec, s[36:37]                                   // 00000000C064: BEFE0124
	v_mov_b32_e32 v6, v71                                      // 00000000C068: 7E0C0347
	s_mov_b64 s[60:61], 0                                      // 00000000C06C: BEBC0180
	v_readlane_b32 s82, v3, 2                                  // 00000000C070: D2890052 00010503
	s_and_b32 s82, s82, 0xffffff                               // 00000000C078: 8652FF52 00FFFFFF
	s_cmp_lt_u32 s82, s66                                      // 00000000C080: BF0A4252
	s_cselect_b32 s20, s36, s60                                // 00000000C084: 85143C24
	v_readlane_b32 s82, v3, 3                                  // 00000000C088: D2890052 00010703
	s_and_b32 s82, s82, 0xffffff                               // 00000000C090: 8652FF52 00FFFFFF
	s_cmp_lt_u32 s82, s66                                      // 00000000C098: BF0A4252
	s_cselect_b32 s21, s36, s60                                // 00000000C09C: 85153C24
	s_mov_b64 exec, s[20:21]                                   // 00000000C0A0: BEFE0114
	global_atomic_add_f32 v6, v175, s[8:9] offset:8            // 00000000C0A4: DD348008 0008AF06
	global_atomic_add_f32 v6, v179, s[8:9] offset:264          // 00000000C0AC: DD348108 0008B306
	s_mov_b64 exec, s[36:37]                                   // 00000000C0B4: BEFE0124
	v_mov_b32_e32 v6, v72                                      // 00000000C0B8: 7E0C0348
	s_mov_b64 s[60:61], 0                                      // 00000000C0BC: BEBC0180
	v_readlane_b32 s82, v3, 4                                  // 00000000C0C0: D2890052 00010903
	s_and_b32 s82, s82, 0xffffff                               // 00000000C0C8: 8652FF52 00FFFFFF
	s_cmp_lt_u32 s82, s66                                      // 00000000C0D0: BF0A4252
	s_cselect_b32 s20, s36, s60                                // 00000000C0D4: 85143C24
	v_readlane_b32 s82, v3, 5                                  // 00000000C0D8: D2890052 00010B03
	s_and_b32 s82, s82, 0xffffff                               // 00000000C0E0: 8652FF52 00FFFFFF
	s_cmp_lt_u32 s82, s66                                      // 00000000C0E8: BF0A4252
	s_cselect_b32 s21, s36, s60                                // 00000000C0EC: 85153C24
	s_mov_b64 exec, s[20:21]                                   // 00000000C0F0: BEFE0114
	global_atomic_add_f32 v6, v182, s[8:9] offset:8            // 00000000C0F4: DD348008 0008B606
	global_atomic_add_f32 v6, v186, s[8:9] offset:264          // 00000000C0FC: DD348108 0008BA06
	s_mov_b64 exec, s[36:37]                                   // 00000000C104: BEFE0124
	v_mov_b32_e32 v6, v73                                      // 00000000C108: 7E0C0349
	s_mov_b64 s[60:61], 0                                      // 00000000C10C: BEBC0180
	v_readlane_b32 s82, v3, 6                                  // 00000000C110: D2890052 00010D03
	s_and_b32 s82, s82, 0xffffff                               // 00000000C118: 8652FF52 00FFFFFF
	s_cmp_lt_u32 s82, s66                                      // 00000000C120: BF0A4252
	s_cselect_b32 s20, s36, s60                                // 00000000C124: 85143C24
	v_readlane_b32 s82, v3, 7                                  // 00000000C128: D2890052 00010F03
	s_and_b32 s82, s82, 0xffffff                               // 00000000C130: 8652FF52 00FFFFFF
	s_cmp_lt_u32 s82, s66                                      // 00000000C138: BF0A4252
	s_cselect_b32 s21, s36, s60                                // 00000000C13C: 85153C24
	s_mov_b64 exec, s[20:21]                                   // 00000000C140: BEFE0114
	global_atomic_add_f32 v6, v183, s[8:9] offset:8            // 00000000C144: DD348008 0008B706
	global_atomic_add_f32 v6, v187, s[8:9] offset:264          // 00000000C14C: DD348108 0008BB06
	s_mov_b64 exec, s[36:37]                                   // 00000000C154: BEFE0124
	v_mov_b32_e32 v6, v74                                      // 00000000C158: 7E0C034A
	s_mov_b64 s[60:61], 0                                      // 00000000C15C: BEBC0180
	v_readlane_b32 s82, v3, 8                                  // 00000000C160: D2890052 00011103
	s_and_b32 s82, s82, 0xffffff                               // 00000000C168: 8652FF52 00FFFFFF
	s_cmp_lt_u32 s82, s66                                      // 00000000C170: BF0A4252
	s_cselect_b32 s20, s36, s60                                // 00000000C174: 85143C24
	v_readlane_b32 s82, v3, 9                                  // 00000000C178: D2890052 00011303
	s_and_b32 s82, s82, 0xffffff                               // 00000000C180: 8652FF52 00FFFFFF
	s_cmp_lt_u32 s82, s66                                      // 00000000C188: BF0A4252
	s_cselect_b32 s21, s36, s60                                // 00000000C18C: 85153C24
	s_mov_b64 exec, s[20:21]                                   // 00000000C190: BEFE0114
	global_atomic_add_f32 v6, v190, s[8:9] offset:8            // 00000000C194: DD348008 0008BE06
	global_atomic_add_f32 v6, v194, s[8:9] offset:264          // 00000000C19C: DD348108 0008C206
	s_mov_b64 exec, s[36:37]                                   // 00000000C1A4: BEFE0124
	v_mov_b32_e32 v6, v75                                      // 00000000C1A8: 7E0C034B
	s_mov_b64 s[60:61], 0                                      // 00000000C1AC: BEBC0180
	v_readlane_b32 s82, v3, 10                                 // 00000000C1B0: D2890052 00011503
	s_and_b32 s82, s82, 0xffffff                               // 00000000C1B8: 8652FF52 00FFFFFF
	s_cmp_lt_u32 s82, s66                                      // 00000000C1C0: BF0A4252
	s_cselect_b32 s20, s36, s60                                // 00000000C1C4: 85143C24
	v_readlane_b32 s82, v3, 11                                 // 00000000C1C8: D2890052 00011703
	s_and_b32 s82, s82, 0xffffff                               // 00000000C1D0: 8652FF52 00FFFFFF
	s_cmp_lt_u32 s82, s66                                      // 00000000C1D8: BF0A4252
	s_cselect_b32 s21, s36, s60                                // 00000000C1DC: 85153C24
	s_mov_b64 exec, s[20:21]                                   // 00000000C1E0: BEFE0114
	global_atomic_add_f32 v6, v191, s[8:9] offset:8            // 00000000C1E4: DD348008 0008BF06
	global_atomic_add_f32 v6, v195, s[8:9] offset:264          // 00000000C1EC: DD348108 0008C306
	s_mov_b64 exec, s[36:37]                                   // 00000000C1F4: BEFE0124
	v_mov_b32_e32 v6, v76                                      // 00000000C1F8: 7E0C034C
	s_mov_b64 s[60:61], 0                                      // 00000000C1FC: BEBC0180
	v_readlane_b32 s82, v3, 12                                 // 00000000C200: D2890052 00011903
	s_and_b32 s82, s82, 0xffffff                               // 00000000C208: 8652FF52 00FFFFFF
	s_cmp_lt_u32 s82, s66                                      // 00000000C210: BF0A4252
	s_cselect_b32 s20, s36, s60                                // 00000000C214: 85143C24
	v_readlane_b32 s82, v3, 13                                 // 00000000C218: D2890052 00011B03
	s_and_b32 s82, s82, 0xffffff                               // 00000000C220: 8652FF52 00FFFFFF
	s_cmp_lt_u32 s82, s66                                      // 00000000C228: BF0A4252
	s_cselect_b32 s21, s36, s60                                // 00000000C22C: 85153C24
	s_mov_b64 exec, s[20:21]                                   // 00000000C230: BEFE0114
	global_atomic_add_f32 v6, v198, s[8:9] offset:8            // 00000000C234: DD348008 0008C606
	global_atomic_add_f32 v6, v202, s[8:9] offset:264          // 00000000C23C: DD348108 0008CA06
	s_mov_b64 exec, s[36:37]                                   // 00000000C244: BEFE0124
	v_mov_b32_e32 v6, v77                                      // 00000000C248: 7E0C034D
	s_mov_b64 s[60:61], 0                                      // 00000000C24C: BEBC0180
	v_readlane_b32 s82, v3, 14                                 // 00000000C250: D2890052 00011D03
	s_and_b32 s82, s82, 0xffffff                               // 00000000C258: 8652FF52 00FFFFFF
	s_cmp_lt_u32 s82, s66                                      // 00000000C260: BF0A4252
	s_cselect_b32 s20, s36, s60                                // 00000000C264: 85143C24
	v_readlane_b32 s82, v3, 15                                 // 00000000C268: D2890052 00011F03
	s_and_b32 s82, s82, 0xffffff                               // 00000000C270: 8652FF52 00FFFFFF
	s_cmp_lt_u32 s82, s66                                      // 00000000C278: BF0A4252
	s_cselect_b32 s21, s36, s60                                // 00000000C27C: 85153C24
	s_mov_b64 exec, s[20:21]                                   // 00000000C280: BEFE0114
	global_atomic_add_f32 v6, v199, s[8:9] offset:8            // 00000000C284: DD348008 0008C706
	global_atomic_add_f32 v6, v203, s[8:9] offset:264          // 00000000C28C: DD348108 0008CB06
	s_mov_b64 exec, s[36:37]                                   // 00000000C294: BEFE0124
	v_mov_b32_e32 v6, v78                                      // 00000000C298: 7E0C034E
	s_mov_b64 s[60:61], 0                                      // 00000000C29C: BEBC0180
	v_readlane_b32 s82, v3, 16                                 // 00000000C2A0: D2890052 00012103
	s_and_b32 s82, s82, 0xffffff                               // 00000000C2A8: 8652FF52 00FFFFFF
	s_cmp_lt_u32 s82, s66                                      // 00000000C2B0: BF0A4252
	s_cselect_b32 s20, s36, s60                                // 00000000C2B4: 85143C24
	v_readlane_b32 s82, v3, 17                                 // 00000000C2B8: D2890052 00012303
	s_and_b32 s82, s82, 0xffffff                               // 00000000C2C0: 8652FF52 00FFFFFF
	s_cmp_lt_u32 s82, s66                                      // 00000000C2C8: BF0A4252
	s_cselect_b32 s21, s36, s60                                // 00000000C2CC: 85153C24
	s_mov_b64 exec, s[20:21]                                   // 00000000C2D0: BEFE0114
	global_atomic_add_f32 v6, v206, s[8:9] offset:8            // 00000000C2D4: DD348008 0008CE06
	global_atomic_add_f32 v6, v210, s[8:9] offset:264          // 00000000C2DC: DD348108 0008D206
	s_mov_b64 exec, s[36:37]                                   // 00000000C2E4: BEFE0124
	v_mov_b32_e32 v6, v79                                      // 00000000C2E8: 7E0C034F
	s_mov_b64 s[60:61], 0                                      // 00000000C2EC: BEBC0180
	v_readlane_b32 s82, v3, 18                                 // 00000000C2F0: D2890052 00012503
	s_and_b32 s82, s82, 0xffffff                               // 00000000C2F8: 8652FF52 00FFFFFF
	s_cmp_lt_u32 s82, s66                                      // 00000000C300: BF0A4252
	s_cselect_b32 s20, s36, s60                                // 00000000C304: 85143C24
	v_readlane_b32 s82, v3, 19                                 // 00000000C308: D2890052 00012703
	s_and_b32 s82, s82, 0xffffff                               // 00000000C310: 8652FF52 00FFFFFF
	s_cmp_lt_u32 s82, s66                                      // 00000000C318: BF0A4252
	s_cselect_b32 s21, s36, s60                                // 00000000C31C: 85153C24
	s_mov_b64 exec, s[20:21]                                   // 00000000C320: BEFE0114
	global_atomic_add_f32 v6, v207, s[8:9] offset:8            // 00000000C324: DD348008 0008CF06
	global_atomic_add_f32 v6, v211, s[8:9] offset:264          // 00000000C32C: DD348108 0008D306
	s_mov_b64 exec, s[36:37]                                   // 00000000C334: BEFE0124
	v_mov_b32_e32 v6, v80                                      // 00000000C338: 7E0C0350
	s_mov_b64 s[60:61], 0                                      // 00000000C33C: BEBC0180
	v_readlane_b32 s82, v3, 20                                 // 00000000C340: D2890052 00012903
	s_and_b32 s82, s82, 0xffffff                               // 00000000C348: 8652FF52 00FFFFFF
	s_cmp_lt_u32 s82, s66                                      // 00000000C350: BF0A4252
	s_cselect_b32 s20, s36, s60                                // 00000000C354: 85143C24
	v_readlane_b32 s82, v3, 21                                 // 00000000C358: D2890052 00012B03
	s_and_b32 s82, s82, 0xffffff                               // 00000000C360: 8652FF52 00FFFFFF
	s_cmp_lt_u32 s82, s66                                      // 00000000C368: BF0A4252
	s_cselect_b32 s21, s36, s60                                // 00000000C36C: 85153C24
	s_mov_b64 exec, s[20:21]                                   // 00000000C370: BEFE0114
	global_atomic_add_f32 v6, v214, s[8:9] offset:8            // 00000000C374: DD348008 0008D606
	global_atomic_add_f32 v6, v218, s[8:9] offset:264          // 00000000C37C: DD348108 0008DA06
	s_mov_b64 exec, s[36:37]                                   // 00000000C384: BEFE0124
	v_mov_b32_e32 v6, v81                                      // 00000000C388: 7E0C0351
	s_mov_b64 s[60:61], 0                                      // 00000000C38C: BEBC0180
	v_readlane_b32 s82, v3, 22                                 // 00000000C390: D2890052 00012D03
	s_and_b32 s82, s82, 0xffffff                               // 00000000C398: 8652FF52 00FFFFFF
	s_cmp_lt_u32 s82, s66                                      // 00000000C3A0: BF0A4252
	s_cselect_b32 s20, s36, s60                                // 00000000C3A4: 85143C24
	v_readlane_b32 s82, v3, 23                                 // 00000000C3A8: D2890052 00012F03
	s_and_b32 s82, s82, 0xffffff                               // 00000000C3B0: 8652FF52 00FFFFFF
	s_cmp_lt_u32 s82, s66                                      // 00000000C3B8: BF0A4252
	s_cselect_b32 s21, s36, s60                                // 00000000C3BC: 85153C24
	s_mov_b64 exec, s[20:21]                                   // 00000000C3C0: BEFE0114
	global_atomic_add_f32 v6, v215, s[8:9] offset:8            // 00000000C3C4: DD348008 0008D706
	global_atomic_add_f32 v6, v219, s[8:9] offset:264          // 00000000C3CC: DD348108 0008DB06
	s_mov_b64 exec, s[36:37]                                   // 00000000C3D4: BEFE0124
	v_mov_b32_e32 v6, v82                                      // 00000000C3D8: 7E0C0352
	s_mov_b64 s[60:61], 0                                      // 00000000C3DC: BEBC0180
	v_readlane_b32 s82, v3, 24                                 // 00000000C3E0: D2890052 00013103
	s_and_b32 s82, s82, 0xffffff                               // 00000000C3E8: 8652FF52 00FFFFFF
	s_cmp_lt_u32 s82, s66                                      // 00000000C3F0: BF0A4252
	s_cselect_b32 s20, s36, s60                                // 00000000C3F4: 85143C24
	v_readlane_b32 s82, v3, 25                                 // 00000000C3F8: D2890052 00013303
	s_and_b32 s82, s82, 0xffffff                               // 00000000C400: 8652FF52 00FFFFFF
	s_cmp_lt_u32 s82, s66                                      // 00000000C408: BF0A4252
	s_cselect_b32 s21, s36, s60                                // 00000000C40C: 85153C24
	s_mov_b64 exec, s[20:21]                                   // 00000000C410: BEFE0114
	global_atomic_add_f32 v6, v222, s[8:9] offset:8            // 00000000C414: DD348008 0008DE06
	global_atomic_add_f32 v6, v226, s[8:9] offset:264          // 00000000C41C: DD348108 0008E206
	s_mov_b64 exec, s[36:37]                                   // 00000000C424: BEFE0124
	v_mov_b32_e32 v6, v83                                      // 00000000C428: 7E0C0353
	s_mov_b64 s[60:61], 0                                      // 00000000C42C: BEBC0180
	v_readlane_b32 s82, v3, 26                                 // 00000000C430: D2890052 00013503
	s_and_b32 s82, s82, 0xffffff                               // 00000000C438: 8652FF52 00FFFFFF
	s_cmp_lt_u32 s82, s66                                      // 00000000C440: BF0A4252
	s_cselect_b32 s20, s36, s60                                // 00000000C444: 85143C24
	v_readlane_b32 s82, v3, 27                                 // 00000000C448: D2890052 00013703
	s_and_b32 s82, s82, 0xffffff                               // 00000000C450: 8652FF52 00FFFFFF
	s_cmp_lt_u32 s82, s66                                      // 00000000C458: BF0A4252
	s_cselect_b32 s21, s36, s60                                // 00000000C45C: 85153C24
	s_mov_b64 exec, s[20:21]                                   // 00000000C460: BEFE0114
	global_atomic_add_f32 v6, v223, s[8:9] offset:8            // 00000000C464: DD348008 0008DF06
	global_atomic_add_f32 v6, v227, s[8:9] offset:264          // 00000000C46C: DD348108 0008E306
	s_mov_b64 exec, s[36:37]                                   // 00000000C474: BEFE0124
	v_mov_b32_e32 v6, v84                                      // 00000000C478: 7E0C0354
	s_mov_b64 s[60:61], 0                                      // 00000000C47C: BEBC0180
	v_readlane_b32 s82, v3, 28                                 // 00000000C480: D2890052 00013903
	s_and_b32 s82, s82, 0xffffff                               // 00000000C488: 8652FF52 00FFFFFF
	s_cmp_lt_u32 s82, s66                                      // 00000000C490: BF0A4252
	s_cselect_b32 s20, s36, s60                                // 00000000C494: 85143C24
	v_readlane_b32 s82, v3, 29                                 // 00000000C498: D2890052 00013B03
	s_and_b32 s82, s82, 0xffffff                               // 00000000C4A0: 8652FF52 00FFFFFF
	s_cmp_lt_u32 s82, s66                                      // 00000000C4A8: BF0A4252
	s_cselect_b32 s21, s36, s60                                // 00000000C4AC: 85153C24
	s_mov_b64 exec, s[20:21]                                   // 00000000C4B0: BEFE0114
	global_atomic_add_f32 v6, v230, s[8:9] offset:8            // 00000000C4B4: DD348008 0008E606
	global_atomic_add_f32 v6, v234, s[8:9] offset:264          // 00000000C4BC: DD348108 0008EA06
	s_mov_b64 exec, s[36:37]                                   // 00000000C4C4: BEFE0124
	v_mov_b32_e32 v6, v85                                      // 00000000C4C8: 7E0C0355
	s_mov_b64 s[60:61], 0                                      // 00000000C4CC: BEBC0180
	v_readlane_b32 s82, v3, 30                                 // 00000000C4D0: D2890052 00013D03
	s_and_b32 s82, s82, 0xffffff                               // 00000000C4D8: 8652FF52 00FFFFFF
	s_cmp_lt_u32 s82, s66                                      // 00000000C4E0: BF0A4252
	s_cselect_b32 s20, s36, s60                                // 00000000C4E4: 85143C24
	v_readlane_b32 s82, v3, 31                                 // 00000000C4E8: D2890052 00013F03
	s_and_b32 s82, s82, 0xffffff                               // 00000000C4F0: 8652FF52 00FFFFFF
	s_cmp_lt_u32 s82, s66                                      // 00000000C4F8: BF0A4252
	s_cselect_b32 s21, s36, s60                                // 00000000C4FC: 85153C24
	s_mov_b64 exec, s[20:21]                                   // 00000000C500: BEFE0114
	global_atomic_add_f32 v6, v231, s[8:9] offset:8            // 00000000C504: DD348008 0008E706
	global_atomic_add_f32 v6, v235, s[8:9] offset:264          // 00000000C50C: DD348108 0008EB06
	s_mov_b64 exec, s[36:37]                                   // 00000000C514: BEFE0124
	v_mov_b32_e32 v6, v86                                      // 00000000C518: 7E0C0356
	s_mov_b64 s[60:61], 0                                      // 00000000C51C: BEBC0180
	v_readlane_b32 s82, v3, 32                                 // 00000000C520: D2890052 00014103
	s_and_b32 s82, s82, 0xffffff                               // 00000000C528: 8652FF52 00FFFFFF
	s_cmp_lt_u32 s82, s66                                      // 00000000C530: BF0A4252
	s_cselect_b32 s20, s36, s60                                // 00000000C534: 85143C24
	v_readlane_b32 s82, v3, 33                                 // 00000000C538: D2890052 00014303
	s_and_b32 s82, s82, 0xffffff                               // 00000000C540: 8652FF52 00FFFFFF
	s_cmp_lt_u32 s82, s66                                      // 00000000C548: BF0A4252
	s_cselect_b32 s21, s36, s60                                // 00000000C54C: 85153C24
	s_mov_b64 exec, s[20:21]                                   // 00000000C550: BEFE0114
	global_atomic_add_f32 v6, v238, s[8:9] offset:8            // 00000000C554: DD348008 0008EE06
	global_atomic_add_f32 v6, v242, s[8:9] offset:264          // 00000000C55C: DD348108 0008F206
	s_mov_b64 exec, s[36:37]                                   // 00000000C564: BEFE0124
	v_mov_b32_e32 v6, v87                                      // 00000000C568: 7E0C0357
	s_mov_b64 s[60:61], 0                                      // 00000000C56C: BEBC0180
	v_readlane_b32 s82, v3, 34                                 // 00000000C570: D2890052 00014503
	s_and_b32 s82, s82, 0xffffff                               // 00000000C578: 8652FF52 00FFFFFF
	s_cmp_lt_u32 s82, s66                                      // 00000000C580: BF0A4252
	s_cselect_b32 s20, s36, s60                                // 00000000C584: 85143C24
	v_readlane_b32 s82, v3, 35                                 // 00000000C588: D2890052 00014703
	s_and_b32 s82, s82, 0xffffff                               // 00000000C590: 8652FF52 00FFFFFF
	s_cmp_lt_u32 s82, s66                                      // 00000000C598: BF0A4252
	s_cselect_b32 s21, s36, s60                                // 00000000C59C: 85153C24
	s_mov_b64 exec, s[20:21]                                   // 00000000C5A0: BEFE0114
	global_atomic_add_f32 v6, v239, s[8:9] offset:8            // 00000000C5A4: DD348008 0008EF06
	global_atomic_add_f32 v6, v243, s[8:9] offset:264          // 00000000C5AC: DD348108 0008F306
	s_mov_b64 exec, s[36:37]                                   // 00000000C5B4: BEFE0124
	v_mov_b32_e32 v6, v88                                      // 00000000C5B8: 7E0C0358
	s_mov_b64 s[60:61], 0                                      // 00000000C5BC: BEBC0180
	v_readlane_b32 s82, v3, 36                                 // 00000000C5C0: D2890052 00014903
	s_and_b32 s82, s82, 0xffffff                               // 00000000C5C8: 8652FF52 00FFFFFF
	s_cmp_lt_u32 s82, s66                                      // 00000000C5D0: BF0A4252
	s_cselect_b32 s20, s36, s60                                // 00000000C5D4: 85143C24
	v_readlane_b32 s82, v3, 37                                 // 00000000C5D8: D2890052 00014B03
	s_and_b32 s82, s82, 0xffffff                               // 00000000C5E0: 8652FF52 00FFFFFF
	s_cmp_lt_u32 s82, s66                                      // 00000000C5E8: BF0A4252
	s_cselect_b32 s21, s36, s60                                // 00000000C5EC: 85153C24
	s_mov_b64 exec, s[20:21]                                   // 00000000C5F0: BEFE0114
	global_atomic_add_f32 v6, v246, s[8:9] offset:8            // 00000000C5F4: DD348008 0008F606
	global_atomic_add_f32 v6, v250, s[8:9] offset:264          // 00000000C5FC: DD348108 0008FA06
	s_mov_b64 exec, s[36:37]                                   // 00000000C604: BEFE0124
	v_mov_b32_e32 v6, v89                                      // 00000000C608: 7E0C0359
	s_mov_b64 s[60:61], 0                                      // 00000000C60C: BEBC0180
	v_readlane_b32 s82, v3, 38                                 // 00000000C610: D2890052 00014D03
	s_and_b32 s82, s82, 0xffffff                               // 00000000C618: 8652FF52 00FFFFFF
	s_cmp_lt_u32 s82, s66                                      // 00000000C620: BF0A4252
	s_cselect_b32 s20, s36, s60                                // 00000000C624: 85143C24
	v_readlane_b32 s82, v3, 39                                 // 00000000C628: D2890052 00014F03
	s_and_b32 s82, s82, 0xffffff                               // 00000000C630: 8652FF52 00FFFFFF
	s_cmp_lt_u32 s82, s66                                      // 00000000C638: BF0A4252
	s_cselect_b32 s21, s36, s60                                // 00000000C63C: 85153C24
	s_mov_b64 exec, s[20:21]                                   // 00000000C640: BEFE0114
	global_atomic_add_f32 v6, v247, s[8:9] offset:8            // 00000000C644: DD348008 0008F706
	global_atomic_add_f32 v6, v251, s[8:9] offset:264          // 00000000C64C: DD348108 0008FB06
	s_mov_b64 exec, s[36:37]                                   // 00000000C654: BEFE0124
	s_branch label_49FE                                        // 00000000C658: BF8222E4

000000000000c65c <label_271A>:
	s_waitcnt vmcnt(24) lgkmcnt(0)                             // 00000000C65C: BF8C4078
	v_mfma_f32_16x16x32_fp8_fp8 v[92:95], a[160:161], a[0:1], v[92:95]// 00000000C660: D3F3005C 1D7201A0
	buffer_load_dwordx4 a[192:195], v90, s[24:27], 0 offen     // 00000000C668: E05C1000 8086C05A
	v_mfma_f32_16x16x32_fp8_fp8 v[92:95], a[162:163], a[2:3], v[92:95]// 00000000C670: D3F3005C 1D7205A2
	v_mfma_f32_16x16x32_fp8_fp8 v[92:95], a[164:165], a[4:5], v[92:95]// 00000000C678: D3F3005C 1D7209A4
	v_mfma_f32_16x16x32_fp8_fp8 v[92:95], a[166:167], a[6:7], v[92:95]// 00000000C680: D3F3005C 1D720DA6
	v_mfma_f32_16x16x32_fp8_fp8 v[132:135], a[168:169], a[0:1], v[132:135]// 00000000C688: D3F30084 1E1201A8
	buffer_load_dwordx4 a[196:199], v90, s[24:27], 0 offen offset:1024// 00000000C690: E05C1400 8086C45A
	v_mfma_f32_16x16x32_fp8_fp8 v[132:135], a[170:171], a[2:3], v[132:135]// 00000000C698: D3F30084 1E1205AA
	v_mfma_f32_16x16x32_fp8_fp8 v[132:135], a[172:173], a[4:5], v[132:135]// 00000000C6A0: D3F30084 1E1209AC
	v_mfma_f32_16x16x32_fp8_fp8 v[132:135], a[174:175], a[6:7], v[132:135]// 00000000C6A8: D3F30084 1E120DAE
	v_mfma_f32_16x16x32_fp8_fp8 v[96:99], a[160:161], a[8:9], v[96:99]// 00000000C6B0: D3F30060 1D8211A0
	buffer_load_dwordx4 a[200:203], v91, s[24:27], 0 offen     // 00000000C6B8: E05C1000 8086C85B
	v_mfma_f32_16x16x32_fp8_fp8 v[96:99], a[162:163], a[10:11], v[96:99]// 00000000C6C0: D3F30060 1D8215A2
	v_mfma_f32_16x16x32_fp8_fp8 v[96:99], a[164:165], a[12:13], v[96:99]// 00000000C6C8: D3F30060 1D8219A4
	v_mfma_f32_16x16x32_fp8_fp8 v[96:99], a[166:167], a[14:15], v[96:99]// 00000000C6D0: D3F30060 1D821DA6
	v_mfma_f32_16x16x32_fp8_fp8 v[136:139], a[168:169], a[8:9], v[136:139]// 00000000C6D8: D3F30088 1E2211A8
	buffer_load_dwordx4 a[204:207], v91, s[24:27], 0 offen offset:1024// 00000000C6E0: E05C1400 8086CC5B
	buffer_load_dword v70, s[20:23], 0 offen lds               // 00000000C6E8: E0511000 80050046
	s_add_u32 m0, 0x100, s50                                   // 00000000C6F0: 807C32FF 00000100
	v_mfma_f32_16x16x32_fp8_fp8 v[136:139], a[170:171], a[10:11], v[136:139]// 00000000C6F8: D3F30088 1E2215AA
	v_mfma_f32_16x16x32_fp8_fp8 v[136:139], a[172:173], a[12:13], v[136:139]// 00000000C700: D3F30088 1E2219AC
	buffer_load_dword v71, s[20:23], 0 offen lds               // 00000000C708: E0511000 80050047
	s_add_u32 m0, 0x200, s50                                   // 00000000C710: 807C32FF 00000200
	v_mfma_f32_16x16x32_fp8_fp8 v[136:139], a[174:175], a[14:15], v[136:139]// 00000000C718: D3F30088 1E221DAE
	v_mfma_f32_16x16x32_fp8_fp8 v[100:103], a[160:161], a[16:17], v[100:103]// 00000000C720: D3F30064 1D9221A0
	buffer_load_dword v72, s[20:23], 0 offen lds               // 00000000C728: E0511000 80050048
	s_add_u32 m0, 0x300, s50                                   // 00000000C730: 807C32FF 00000300
	v_mfma_f32_16x16x32_fp8_fp8 v[100:103], a[162:163], a[18:19], v[100:103]// 00000000C738: D3F30064 1D9225A2
	v_mfma_f32_16x16x32_fp8_fp8 v[100:103], a[164:165], a[20:21], v[100:103]// 00000000C740: D3F30064 1D9229A4
	buffer_load_dword v73, s[20:23], 0 offen lds               // 00000000C748: E0511000 80050049
	s_add_u32 m0, 0x400, s50                                   // 00000000C750: 807C32FF 00000400
	v_mfma_f32_16x16x32_fp8_fp8 v[100:103], a[166:167], a[22:23], v[100:103]// 00000000C758: D3F30064 1D922DA6
	v_mfma_f32_16x16x32_fp8_fp8 v[140:143], a[168:169], a[16:17], v[140:143]// 00000000C760: D3F3008C 1E3221A8
	buffer_load_dword v74, s[20:23], 0 offen lds               // 00000000C768: E0511000 8005004A
	s_add_u32 m0, 0x500, s50                                   // 00000000C770: 807C32FF 00000500
	v_mfma_f32_16x16x32_fp8_fp8 v[140:143], a[170:171], a[18:19], v[140:143]// 00000000C778: D3F3008C 1E3225AA
	v_mfma_f32_16x16x32_fp8_fp8 v[140:143], a[172:173], a[20:21], v[140:143]// 00000000C780: D3F3008C 1E3229AC
	buffer_load_dword v75, s[20:23], 0 offen lds               // 00000000C788: E0511000 8005004B
	s_add_u32 m0, 0x600, s50                                   // 00000000C790: 807C32FF 00000600
	v_mfma_f32_16x16x32_fp8_fp8 v[140:143], a[174:175], a[22:23], v[140:143]// 00000000C798: D3F3008C 1E322DAE
	v_mfma_f32_16x16x32_fp8_fp8 v[104:107], a[160:161], a[24:25], v[104:107]// 00000000C7A0: D3F30068 1DA231A0
	buffer_load_dword v76, s[20:23], 0 offen lds               // 00000000C7A8: E0511000 8005004C
	s_add_u32 m0, 0x700, s50                                   // 00000000C7B0: 807C32FF 00000700
	v_mfma_f32_16x16x32_fp8_fp8 v[104:107], a[162:163], a[26:27], v[104:107]// 00000000C7B8: D3F30068 1DA235A2
	v_mfma_f32_16x16x32_fp8_fp8 v[104:107], a[164:165], a[28:29], v[104:107]// 00000000C7C0: D3F30068 1DA239A4
	buffer_load_dword v77, s[20:23], 0 offen lds               // 00000000C7C8: E0511000 8005004D
	s_add_u32 m0, 0x800, s50                                   // 00000000C7D0: 807C32FF 00000800
	v_mfma_f32_16x16x32_fp8_fp8 v[104:107], a[166:167], a[30:31], v[104:107]// 00000000C7D8: D3F30068 1DA23DA6
	v_mfma_f32_16x16x32_fp8_fp8 v[144:147], a[168:169], a[24:25], v[144:147]// 00000000C7E0: D3F30090 1E4231A8
	buffer_load_dword v78, s[20:23], 0 offen lds               // 00000000C7E8: E0511000 8005004E
	s_add_u32 m0, 0x900, s50                                   // 00000000C7F0: 807C32FF 00000900
	v_mfma_f32_16x16x32_fp8_fp8 v[144:147], a[170:171], a[26:27], v[144:147]// 00000000C7F8: D3F30090 1E4235AA
	v_mfma_f32_16x16x32_fp8_fp8 v[144:147], a[172:173], a[28:29], v[144:147]// 00000000C800: D3F30090 1E4239AC
	buffer_load_dword v79, s[20:23], 0 offen lds               // 00000000C808: E0511000 8005004F
	s_add_u32 m0, 0xa00, s50                                   // 00000000C810: 807C32FF 00000A00
	v_mfma_f32_16x16x32_fp8_fp8 v[144:147], a[174:175], a[30:31], v[144:147]// 00000000C818: D3F30090 1E423DAE
	v_mfma_f32_16x16x32_fp8_fp8 v[108:111], a[160:161], a[32:33], v[108:111]// 00000000C820: D3F3006C 1DB241A0
	buffer_load_dword v80, s[20:23], 0 offen lds               // 00000000C828: E0511000 80050050
	s_add_u32 m0, 0xb00, s50                                   // 00000000C830: 807C32FF 00000B00
	v_mfma_f32_16x16x32_fp8_fp8 v[108:111], a[162:163], a[34:35], v[108:111]// 00000000C838: D3F3006C 1DB245A2
	v_mfma_f32_16x16x32_fp8_fp8 v[108:111], a[164:165], a[36:37], v[108:111]// 00000000C840: D3F3006C 1DB249A4
	buffer_load_dword v81, s[20:23], 0 offen lds               // 00000000C848: E0511000 80050051
	s_add_u32 m0, 0xc00, s50                                   // 00000000C850: 807C32FF 00000C00
	v_mfma_f32_16x16x32_fp8_fp8 v[108:111], a[166:167], a[38:39], v[108:111]// 00000000C858: D3F3006C 1DB24DA6
	v_mfma_f32_16x16x32_fp8_fp8 v[148:151], a[168:169], a[32:33], v[148:151]// 00000000C860: D3F30094 1E5241A8
	buffer_load_dword v82, s[20:23], 0 offen lds               // 00000000C868: E0511000 80050052
	s_add_u32 m0, 0xd00, s50                                   // 00000000C870: 807C32FF 00000D00
	v_mfma_f32_16x16x32_fp8_fp8 v[148:151], a[170:171], a[34:35], v[148:151]// 00000000C878: D3F30094 1E5245AA
	v_mfma_f32_16x16x32_fp8_fp8 v[148:151], a[172:173], a[36:37], v[148:151]// 00000000C880: D3F30094 1E5249AC
	buffer_load_dword v83, s[20:23], 0 offen lds               // 00000000C888: E0511000 80050053
	s_add_u32 m0, 0xe00, s50                                   // 00000000C890: 807C32FF 00000E00
	v_mfma_f32_16x16x32_fp8_fp8 v[148:151], a[174:175], a[38:39], v[148:151]// 00000000C898: D3F30094 1E524DAE
	v_mfma_f32_16x16x32_fp8_fp8 v[112:115], a[160:161], a[40:41], v[112:115]// 00000000C8A0: D3F30070 1DC251A0
	buffer_load_dword v84, s[20:23], 0 offen lds               // 00000000C8A8: E0511000 80050054
	s_add_u32 m0, 0xf00, s50                                   // 00000000C8B0: 807C32FF 00000F00
	v_mfma_f32_16x16x32_fp8_fp8 v[112:115], a[162:163], a[42:43], v[112:115]// 00000000C8B8: D3F30070 1DC255A2
	v_mfma_f32_16x16x32_fp8_fp8 v[112:115], a[164:165], a[44:45], v[112:115]// 00000000C8C0: D3F30070 1DC259A4
	buffer_load_dword v85, s[20:23], 0 offen lds               // 00000000C8C8: E0511000 80050055
	s_add_u32 m0, 0x1000, s50                                  // 00000000C8D0: 807C32FF 00001000
	v_mfma_f32_16x16x32_fp8_fp8 v[112:115], a[166:167], a[46:47], v[112:115]// 00000000C8D8: D3F30070 1DC25DA6
	v_mfma_f32_16x16x32_fp8_fp8 v[152:155], a[168:169], a[40:41], v[152:155]// 00000000C8E0: D3F30098 1E6251A8
	buffer_load_dword v86, s[20:23], 0 offen lds               // 00000000C8E8: E0511000 80050056
	s_add_u32 m0, 0x1100, s50                                  // 00000000C8F0: 807C32FF 00001100
	v_mfma_f32_16x16x32_fp8_fp8 v[152:155], a[170:171], a[42:43], v[152:155]// 00000000C8F8: D3F30098 1E6255AA
	v_mfma_f32_16x16x32_fp8_fp8 v[152:155], a[172:173], a[44:45], v[152:155]// 00000000C900: D3F30098 1E6259AC
	buffer_load_dword v87, s[20:23], 0 offen lds               // 00000000C908: E0511000 80050057
	s_add_u32 m0, 0x1200, s50                                  // 00000000C910: 807C32FF 00001200
	v_mfma_f32_16x16x32_fp8_fp8 v[152:155], a[174:175], a[46:47], v[152:155]// 00000000C918: D3F30098 1E625DAE
	v_mfma_f32_16x16x32_fp8_fp8 v[116:119], a[160:161], a[48:49], v[116:119]// 00000000C920: D3F30074 1DD261A0
	buffer_load_dword v88, s[20:23], 0 offen lds               // 00000000C928: E0511000 80050058
	s_add_u32 m0, 0x1300, s50                                  // 00000000C930: 807C32FF 00001300
	v_mfma_f32_16x16x32_fp8_fp8 v[116:119], a[162:163], a[50:51], v[116:119]// 00000000C938: D3F30074 1DD265A2
	v_mfma_f32_16x16x32_fp8_fp8 v[116:119], a[164:165], a[52:53], v[116:119]// 00000000C940: D3F30074 1DD269A4
	buffer_load_dword v89, s[20:23], 0 offen lds               // 00000000C948: E0511000 80050059
	s_add_u32 m0, 0, s48                                       // 00000000C950: 807C3080
	v_mfma_f32_16x16x32_fp8_fp8 v[116:119], a[166:167], a[54:55], v[116:119]// 00000000C954: D3F30074 1DD26DA6
	v_mfma_f32_16x16x32_fp8_fp8 v[156:159], a[168:169], a[48:49], v[156:159]// 00000000C95C: D3F3009C 1E7261A8
	v_mfma_f32_16x16x32_fp8_fp8 v[156:159], a[170:171], a[50:51], v[156:159]// 00000000C964: D3F3009C 1E7265AA
	v_mfma_f32_16x16x32_fp8_fp8 v[156:159], a[172:173], a[52:53], v[156:159]// 00000000C96C: D3F3009C 1E7269AC
	v_mfma_f32_16x16x32_fp8_fp8 v[156:159], a[174:175], a[54:55], v[156:159]// 00000000C974: D3F3009C 1E726DAE
	v_mfma_f32_16x16x32_fp8_fp8 v[120:123], a[160:161], a[56:57], v[120:123]// 00000000C97C: D3F30078 1DE271A0
	v_mfma_f32_16x16x32_fp8_fp8 v[120:123], a[162:163], a[58:59], v[120:123]// 00000000C984: D3F30078 1DE275A2
	v_mfma_f32_16x16x32_fp8_fp8 v[120:123], a[164:165], a[60:61], v[120:123]// 00000000C98C: D3F30078 1DE279A4
	v_mfma_f32_16x16x32_fp8_fp8 v[120:123], a[166:167], a[62:63], v[120:123]// 00000000C994: D3F30078 1DE27DA6
	v_mfma_f32_16x16x32_fp8_fp8 v[160:163], a[168:169], a[56:57], v[160:163]// 00000000C99C: D3F300A0 1E8271A8
	v_mfma_f32_16x16x32_fp8_fp8 v[160:163], a[170:171], a[58:59], v[160:163]// 00000000C9A4: D3F300A0 1E8275AA
	v_mfma_f32_16x16x32_fp8_fp8 v[160:163], a[172:173], a[60:61], v[160:163]// 00000000C9AC: D3F300A0 1E8279AC
	v_mfma_f32_16x16x32_fp8_fp8 v[160:163], a[174:175], a[62:63], v[160:163]// 00000000C9B4: D3F300A0 1E827DAE
	v_mfma_f32_16x16x32_fp8_fp8 v[124:127], a[160:161], a[64:65], v[124:127]// 00000000C9BC: D3F3007C 1DF281A0
	v_mfma_f32_16x16x32_fp8_fp8 v[124:127], a[162:163], a[66:67], v[124:127]// 00000000C9C4: D3F3007C 1DF285A2
	v_mfma_f32_16x16x32_fp8_fp8 v[124:127], a[164:165], a[68:69], v[124:127]// 00000000C9CC: D3F3007C 1DF289A4
	v_mfma_f32_16x16x32_fp8_fp8 v[124:127], a[166:167], a[70:71], v[124:127]// 00000000C9D4: D3F3007C 1DF28DA6
	v_mfma_f32_16x16x32_fp8_fp8 v[164:167], a[168:169], a[64:65], v[164:167]// 00000000C9DC: D3F300A4 1E9281A8
	v_mfma_f32_16x16x32_fp8_fp8 v[164:167], a[170:171], a[66:67], v[164:167]// 00000000C9E4: D3F300A4 1E9285AA
	v_mfma_f32_16x16x32_fp8_fp8 v[164:167], a[172:173], a[68:69], v[164:167]// 00000000C9EC: D3F300A4 1E9289AC
	v_mfma_f32_16x16x32_fp8_fp8 v[164:167], a[174:175], a[70:71], v[164:167]// 00000000C9F4: D3F300A4 1E928DAE
	v_mfma_f32_16x16x32_fp8_fp8 v[128:131], a[160:161], a[72:73], v[128:131]// 00000000C9FC: D3F30080 1E0291A0
	v_mfma_f32_16x16x32_fp8_fp8 v[128:131], a[162:163], a[74:75], v[128:131]// 00000000CA04: D3F30080 1E0295A2
	v_mfma_f32_16x16x32_fp8_fp8 v[128:131], a[164:165], a[76:77], v[128:131]// 00000000CA0C: D3F30080 1E0299A4
	v_mfma_f32_16x16x32_fp8_fp8 v[128:131], a[166:167], a[78:79], v[128:131]// 00000000CA14: D3F30080 1E029DA6
	v_mfma_f32_16x16x32_fp8_fp8 v[168:171], a[168:169], a[72:73], v[168:171]// 00000000CA1C: D3F300A8 1EA291A8
	v_mfma_f32_16x16x32_fp8_fp8 v[168:171], a[170:171], a[74:75], v[168:171]// 00000000CA24: D3F300A8 1EA295AA
	v_mfma_f32_16x16x32_fp8_fp8 v[168:171], a[172:173], a[76:77], v[168:171]// 00000000CA2C: D3F300A8 1EA299AC
	v_mfma_f32_16x16x32_fp8_fp8 v[168:171], a[174:175], a[78:79], v[168:171]// 00000000CA34: D3F300A8 1EA29DAE
	s_waitcnt vmcnt(24)                                        // 00000000CA3C: BF8C4F78
	s_barrier                                                  // 00000000CA40: BF8A0000
	v_mfma_f32_16x16x32_fp8_fp8 v[172:175], a[176:177], a[0:1], v[172:175]// 00000000CA44: D3F300AC 1EB201B0
	buffer_load_dwordx4 a[160:163], v90, s[84:87], 0 offen     // 00000000CA4C: E05C1000 8095A05A
	v_mfma_f32_16x16x32_fp8_fp8 v[172:175], a[178:179], a[2:3], v[172:175]// 00000000CA54: D3F300AC 1EB205B2
	v_mfma_f32_16x16x32_fp8_fp8 v[172:175], a[180:181], a[4:5], v[172:175]// 00000000CA5C: D3F300AC 1EB209B4
	ds_read_b128 a[80:83], v2 offset:20608                     // 00000000CA64: DBFE5080 50000002
	ds_read_b128 a[84:87], v2 offset:20672                     // 00000000CA6C: DBFE50C0 54000002
	v_mfma_f32_16x16x32_fp8_fp8 v[172:175], a[182:183], a[6:7], v[172:175]// 00000000CA74: D3F300AC 1EB20DB6
	v_mfma_f32_16x16x32_fp8_fp8 v[212:215], a[184:185], a[0:1], v[212:215]// 00000000CA7C: D3F300D4 1F5201B8
	buffer_load_dwordx4 a[164:167], v90, s[84:87], 0 offen offset:1024// 00000000CA84: E05C1400 8095A45A
	v_mfma_f32_16x16x32_fp8_fp8 v[212:215], a[186:187], a[2:3], v[212:215]// 00000000CA8C: D3F300D4 1F5205BA
	v_mfma_f32_16x16x32_fp8_fp8 v[212:215], a[188:189], a[4:5], v[212:215]// 00000000CA94: D3F300D4 1F5209BC
	ds_read_b128 a[88:91], v2 offset:21120                     // 00000000CA9C: DBFE5280 58000002
	ds_read_b128 a[92:95], v2 offset:21184                     // 00000000CAA4: DBFE52C0 5C000002
	v_mfma_f32_16x16x32_fp8_fp8 v[212:215], a[190:191], a[6:7], v[212:215]// 00000000CAAC: D3F300D4 1F520DBE
	v_mfma_f32_16x16x32_fp8_fp8 v[176:179], a[176:177], a[8:9], v[176:179]// 00000000CAB4: D3F300B0 1EC211B0
	buffer_load_dwordx4 a[168:171], v91, s[84:87], 0 offen     // 00000000CABC: E05C1000 8095A85B
	v_mfma_f32_16x16x32_fp8_fp8 v[176:179], a[178:179], a[10:11], v[176:179]// 00000000CAC4: D3F300B0 1EC215B2
	v_mfma_f32_16x16x32_fp8_fp8 v[176:179], a[180:181], a[12:13], v[176:179]// 00000000CACC: D3F300B0 1EC219B4
	ds_read_b128 a[96:99], v2 offset:21632                     // 00000000CAD4: DBFE5480 60000002
	ds_read_b128 a[100:103], v2 offset:21696                   // 00000000CADC: DBFE54C0 64000002
	v_mfma_f32_16x16x32_fp8_fp8 v[176:179], a[182:183], a[14:15], v[176:179]// 00000000CAE4: D3F300B0 1EC21DB6
	v_mfma_f32_16x16x32_fp8_fp8 v[216:219], a[184:185], a[8:9], v[216:219]// 00000000CAEC: D3F300D8 1F6211B8
	buffer_load_dwordx4 a[172:175], v91, s[84:87], 0 offen offset:1024// 00000000CAF4: E05C1400 8095AC5B
	v_mfma_f32_16x16x32_fp8_fp8 v[216:219], a[186:187], a[10:11], v[216:219]// 00000000CAFC: D3F300D8 1F6215BA
	v_mfma_f32_16x16x32_fp8_fp8 v[216:219], a[188:189], a[12:13], v[216:219]// 00000000CB04: D3F300D8 1F6219BC
	ds_read_b128 a[104:107], v2 offset:22144                   // 00000000CB0C: DBFE5680 68000002
	ds_read_b128 a[108:111], v2 offset:22208                   // 00000000CB14: DBFE56C0 6C000002
	v_mfma_f32_16x16x32_fp8_fp8 v[216:219], a[190:191], a[14:15], v[216:219]// 00000000CB1C: D3F300D8 1F621DBE
	v_mfma_f32_16x16x32_fp8_fp8 v[180:183], a[176:177], a[16:17], v[180:183]// 00000000CB24: D3F300B4 1ED221B0
	v_mfma_f32_16x16x32_fp8_fp8 v[180:183], a[178:179], a[18:19], v[180:183]// 00000000CB2C: D3F300B4 1ED225B2
	v_mfma_f32_16x16x32_fp8_fp8 v[180:183], a[180:181], a[20:21], v[180:183]// 00000000CB34: D3F300B4 1ED229B4
	ds_read_b128 a[112:115], v2 offset:22656                   // 00000000CB3C: DBFE5880 70000002
	ds_read_b128 a[116:119], v2 offset:22720                   // 00000000CB44: DBFE58C0 74000002
	v_mfma_f32_16x16x32_fp8_fp8 v[180:183], a[182:183], a[22:23], v[180:183]// 00000000CB4C: D3F300B4 1ED22DB6
	v_mfma_f32_16x16x32_fp8_fp8 v[220:223], a[184:185], a[16:17], v[220:223]// 00000000CB54: D3F300DC 1F7221B8
	v_mfma_f32_16x16x32_fp8_fp8 v[220:223], a[186:187], a[18:19], v[220:223]// 00000000CB5C: D3F300DC 1F7225BA
	v_mfma_f32_16x16x32_fp8_fp8 v[220:223], a[188:189], a[20:21], v[220:223]// 00000000CB64: D3F300DC 1F7229BC
	ds_read_b128 a[120:123], v2 offset:23168                   // 00000000CB6C: DBFE5A80 78000002
	ds_read_b128 a[124:127], v2 offset:23232                   // 00000000CB74: DBFE5AC0 7C000002
	v_mfma_f32_16x16x32_fp8_fp8 v[220:223], a[190:191], a[22:23], v[220:223]// 00000000CB7C: D3F300DC 1F722DBE
	v_mfma_f32_16x16x32_fp8_fp8 v[184:187], a[176:177], a[24:25], v[184:187]// 00000000CB84: D3F300B8 1EE231B0
	v_mfma_f32_16x16x32_fp8_fp8 v[184:187], a[178:179], a[26:27], v[184:187]// 00000000CB8C: D3F300B8 1EE235B2
	v_mfma_f32_16x16x32_fp8_fp8 v[184:187], a[180:181], a[28:29], v[184:187]// 00000000CB94: D3F300B8 1EE239B4
	ds_read_b128 a[128:131], v2 offset:23680                   // 00000000CB9C: DBFE5C80 80000002
	ds_read_b128 a[132:135], v2 offset:23744                   // 00000000CBA4: DBFE5CC0 84000002
	v_mfma_f32_16x16x32_fp8_fp8 v[184:187], a[182:183], a[30:31], v[184:187]// 00000000CBAC: D3F300B8 1EE23DB6
	v_mfma_f32_16x16x32_fp8_fp8 v[224:227], a[184:185], a[24:25], v[224:227]// 00000000CBB4: D3F300E0 1F8231B8
	v_mfma_f32_16x16x32_fp8_fp8 v[224:227], a[186:187], a[26:27], v[224:227]// 00000000CBBC: D3F300E0 1F8235BA
	v_mfma_f32_16x16x32_fp8_fp8 v[224:227], a[188:189], a[28:29], v[224:227]// 00000000CBC4: D3F300E0 1F8239BC
	ds_read_b128 a[136:139], v2 offset:24192                   // 00000000CBCC: DBFE5E80 88000002
	ds_read_b128 a[140:143], v2 offset:24256                   // 00000000CBD4: DBFE5EC0 8C000002
	v_mfma_f32_16x16x32_fp8_fp8 v[224:227], a[190:191], a[30:31], v[224:227]// 00000000CBDC: D3F300E0 1F823DBE
	v_mfma_f32_16x16x32_fp8_fp8 v[188:191], a[176:177], a[32:33], v[188:191]// 00000000CBE4: D3F300BC 1EF241B0
	v_mfma_f32_16x16x32_fp8_fp8 v[188:191], a[178:179], a[34:35], v[188:191]// 00000000CBEC: D3F300BC 1EF245B2
	v_mfma_f32_16x16x32_fp8_fp8 v[188:191], a[180:181], a[36:37], v[188:191]// 00000000CBF4: D3F300BC 1EF249B4
	ds_read_b128 a[144:147], v2 offset:24704                   // 00000000CBFC: DBFE6080 90000002
	ds_read_b128 a[148:151], v2 offset:24768                   // 00000000CC04: DBFE60C0 94000002
	v_mfma_f32_16x16x32_fp8_fp8 v[188:191], a[182:183], a[38:39], v[188:191]// 00000000CC0C: D3F300BC 1EF24DB6
	v_mfma_f32_16x16x32_fp8_fp8 v[228:231], a[184:185], a[32:33], v[228:231]// 00000000CC14: D3F300E4 1F9241B8
	v_mfma_f32_16x16x32_fp8_fp8 v[228:231], a[186:187], a[34:35], v[228:231]// 00000000CC1C: D3F300E4 1F9245BA
	v_mfma_f32_16x16x32_fp8_fp8 v[228:231], a[188:189], a[36:37], v[228:231]// 00000000CC24: D3F300E4 1F9249BC
	ds_read_b128 a[152:155], v2 offset:25216                   // 00000000CC2C: DBFE6280 98000002
	ds_read_b128 a[156:159], v2 offset:25280                   // 00000000CC34: DBFE62C0 9C000002
	v_mfma_f32_16x16x32_fp8_fp8 v[228:231], a[190:191], a[38:39], v[228:231]// 00000000CC3C: D3F300E4 1F924DBE
	v_mfma_f32_16x16x32_fp8_fp8 v[192:195], a[176:177], a[40:41], v[192:195]// 00000000CC44: D3F300C0 1F0251B0
	v_mfma_f32_16x16x32_fp8_fp8 v[192:195], a[178:179], a[42:43], v[192:195]// 00000000CC4C: D3F300C0 1F0255B2
	v_mfma_f32_16x16x32_fp8_fp8 v[192:195], a[180:181], a[44:45], v[192:195]// 00000000CC54: D3F300C0 1F0259B4
	v_mfma_f32_16x16x32_fp8_fp8 v[192:195], a[182:183], a[46:47], v[192:195]// 00000000CC5C: D3F300C0 1F025DB6
	v_mfma_f32_16x16x32_fp8_fp8 v[232:235], a[184:185], a[40:41], v[232:235]// 00000000CC64: D3F300E8 1FA251B8
	v_mfma_f32_16x16x32_fp8_fp8 v[232:235], a[186:187], a[42:43], v[232:235]// 00000000CC6C: D3F300E8 1FA255BA
	v_mfma_f32_16x16x32_fp8_fp8 v[232:235], a[188:189], a[44:45], v[232:235]// 00000000CC74: D3F300E8 1FA259BC
	v_mfma_f32_16x16x32_fp8_fp8 v[232:235], a[190:191], a[46:47], v[232:235]// 00000000CC7C: D3F300E8 1FA25DBE
	v_mfma_f32_16x16x32_fp8_fp8 v[196:199], a[176:177], a[48:49], v[196:199]// 00000000CC84: D3F300C4 1F1261B0
	v_mfma_f32_16x16x32_fp8_fp8 v[196:199], a[178:179], a[50:51], v[196:199]// 00000000CC8C: D3F300C4 1F1265B2
	v_mfma_f32_16x16x32_fp8_fp8 v[196:199], a[180:181], a[52:53], v[196:199]// 00000000CC94: D3F300C4 1F1269B4
	v_mfma_f32_16x16x32_fp8_fp8 v[196:199], a[182:183], a[54:55], v[196:199]// 00000000CC9C: D3F300C4 1F126DB6
	v_mfma_f32_16x16x32_fp8_fp8 v[236:239], a[184:185], a[48:49], v[236:239]// 00000000CCA4: D3F300EC 1FB261B8
	v_mfma_f32_16x16x32_fp8_fp8 v[236:239], a[186:187], a[50:51], v[236:239]// 00000000CCAC: D3F300EC 1FB265BA
	v_mfma_f32_16x16x32_fp8_fp8 v[236:239], a[188:189], a[52:53], v[236:239]// 00000000CCB4: D3F300EC 1FB269BC
	v_mfma_f32_16x16x32_fp8_fp8 v[236:239], a[190:191], a[54:55], v[236:239]// 00000000CCBC: D3F300EC 1FB26DBE
	v_mfma_f32_16x16x32_fp8_fp8 v[200:203], a[176:177], a[56:57], v[200:203]// 00000000CCC4: D3F300C8 1F2271B0
	v_mfma_f32_16x16x32_fp8_fp8 v[200:203], a[178:179], a[58:59], v[200:203]// 00000000CCCC: D3F300C8 1F2275B2
	v_mfma_f32_16x16x32_fp8_fp8 v[200:203], a[180:181], a[60:61], v[200:203]// 00000000CCD4: D3F300C8 1F2279B4
	v_mfma_f32_16x16x32_fp8_fp8 v[200:203], a[182:183], a[62:63], v[200:203]// 00000000CCDC: D3F300C8 1F227DB6
	v_mfma_f32_16x16x32_fp8_fp8 v[240:243], a[184:185], a[56:57], v[240:243]// 00000000CCE4: D3F300F0 1FC271B8
	v_mfma_f32_16x16x32_fp8_fp8 v[240:243], a[186:187], a[58:59], v[240:243]// 00000000CCEC: D3F300F0 1FC275BA
	v_mfma_f32_16x16x32_fp8_fp8 v[240:243], a[188:189], a[60:61], v[240:243]// 00000000CCF4: D3F300F0 1FC279BC
	v_mfma_f32_16x16x32_fp8_fp8 v[240:243], a[190:191], a[62:63], v[240:243]// 00000000CCFC: D3F300F0 1FC27DBE
	v_mfma_f32_16x16x32_fp8_fp8 v[204:207], a[176:177], a[64:65], v[204:207]// 00000000CD04: D3F300CC 1F3281B0
	v_mfma_f32_16x16x32_fp8_fp8 v[204:207], a[178:179], a[66:67], v[204:207]// 00000000CD0C: D3F300CC 1F3285B2
	v_mfma_f32_16x16x32_fp8_fp8 v[204:207], a[180:181], a[68:69], v[204:207]// 00000000CD14: D3F300CC 1F3289B4
	v_mfma_f32_16x16x32_fp8_fp8 v[204:207], a[182:183], a[70:71], v[204:207]// 00000000CD1C: D3F300CC 1F328DB6
	v_mfma_f32_16x16x32_fp8_fp8 v[244:247], a[184:185], a[64:65], v[244:247]// 00000000CD24: D3F300F4 1FD281B8
	v_mfma_f32_16x16x32_fp8_fp8 v[244:247], a[186:187], a[66:67], v[244:247]// 00000000CD2C: D3F300F4 1FD285BA
	v_mfma_f32_16x16x32_fp8_fp8 v[244:247], a[188:189], a[68:69], v[244:247]// 00000000CD34: D3F300F4 1FD289BC
	v_mfma_f32_16x16x32_fp8_fp8 v[244:247], a[190:191], a[70:71], v[244:247]// 00000000CD3C: D3F300F4 1FD28DBE
	v_mfma_f32_16x16x32_fp8_fp8 v[208:211], a[176:177], a[72:73], v[208:211]// 00000000CD44: D3F300D0 1F4291B0
	s_add_u32 s60, 0x180, s80                                  // 00000000CD4C: 803C50FF 00000180
	s_cmp_lt_u32 s60, s81                                      // 00000000CD54: BF0A513C
	s_cselect_b32 s57, s57, 0                                  // 00000000CD58: 85398039
	v_mfma_f32_16x16x32_fp8_fp8 v[208:211], a[178:179], a[74:75], v[208:211]// 00000000CD5C: D3F300D0 1F4295B2
	s_add_u32 s60, 0x100, s80                                  // 00000000CD64: 803C50FF 00000100
	s_cmp_lt_u32 s60, s81                                      // 00000000CD6C: BF0A513C
	s_cselect_b32 s58, s58, 0                                  // 00000000CD70: 853A803A
	v_mfma_f32_16x16x32_fp8_fp8 v[208:211], a[180:181], a[76:77], v[208:211]// 00000000CD74: D3F300D0 1F4299B4
	s_add_u32 s60, 0x100, s80                                  // 00000000CD7C: 803C50FF 00000100
	s_cmp_lt_u32 s60, s81                                      // 00000000CD84: BF0A513C
	s_cselect_b32 s83, s83, 0                                  // 00000000CD88: 85538053
	v_mfma_f32_16x16x32_fp8_fp8 v[208:211], a[182:183], a[78:79], v[208:211]// 00000000CD8C: D3F300D0 1F429DB6
	s_add_u32 s24, s58, s24                                    // 00000000CD94: 8018183A
	s_addc_u32 s25, 0, s25                                     // 00000000CD98: 82191980
	v_mfma_f32_16x16x32_fp8_fp8 v[248:251], a[184:185], a[72:73], v[248:251]// 00000000CD9C: D3F300F8 1FE291B8
	s_add_u32 s20, s57, s20                                    // 00000000CDA4: 80141439
	s_addc_u32 s21, 0, s21                                     // 00000000CDA8: 82151580
	v_mfma_f32_16x16x32_fp8_fp8 v[248:251], a[186:187], a[74:75], v[248:251]// 00000000CDAC: D3F300F8 1FE295BA
	s_add_u32 s84, s83, s84                                    // 00000000CDB4: 80545453
	s_addc_u32 s85, 0, s85                                     // 00000000CDB8: 82555580
	v_mfma_f32_16x16x32_fp8_fp8 v[248:251], a[188:189], a[76:77], v[248:251]// 00000000CDBC: D3F300F8 1FE299BC
	v_mfma_f32_16x16x32_fp8_fp8 v[248:251], a[190:191], a[78:79], v[248:251]// 00000000CDC4: D3F300F8 1FE29DBE
	s_addk_i32 s80, 0x80                                       // 00000000CDCC: B7500080
	s_cmp_lt_i32 s80, s81                                      // 00000000CDD0: BF045150
	s_cbranch_scc0 label_3255                                  // 00000000CDD4: BF84095C
	s_waitcnt vmcnt(24) lgkmcnt(0)                             // 00000000CDD8: BF8C4078
	v_mfma_f32_16x16x32_fp8_fp8 v[92:95], a[192:193], a[80:81], v[92:95]// 00000000CDDC: D3F3005C 1D72A1C0
	buffer_load_dwordx4 a[176:179], v90, s[24:27], 0 offen     // 00000000CDE4: E05C1000 8086B05A
	v_mfma_f32_16x16x32_fp8_fp8 v[92:95], a[194:195], a[82:83], v[92:95]// 00000000CDEC: D3F3005C 1D72A5C2
	v_mfma_f32_16x16x32_fp8_fp8 v[92:95], a[196:197], a[84:85], v[92:95]// 00000000CDF4: D3F3005C 1D72A9C4
	v_mfma_f32_16x16x32_fp8_fp8 v[92:95], a[198:199], a[86:87], v[92:95]// 00000000CDFC: D3F3005C 1D72ADC6
	v_mfma_f32_16x16x32_fp8_fp8 v[132:135], a[200:201], a[80:81], v[132:135]// 00000000CE04: D3F30084 1E12A1C8
	buffer_load_dwordx4 a[180:183], v90, s[24:27], 0 offen offset:1024// 00000000CE0C: E05C1400 8086B45A
	v_mfma_f32_16x16x32_fp8_fp8 v[132:135], a[202:203], a[82:83], v[132:135]// 00000000CE14: D3F30084 1E12A5CA
	v_mfma_f32_16x16x32_fp8_fp8 v[132:135], a[204:205], a[84:85], v[132:135]// 00000000CE1C: D3F30084 1E12A9CC
	v_mfma_f32_16x16x32_fp8_fp8 v[132:135], a[206:207], a[86:87], v[132:135]// 00000000CE24: D3F30084 1E12ADCE
	v_mfma_f32_16x16x32_fp8_fp8 v[96:99], a[192:193], a[88:89], v[96:99]// 00000000CE2C: D3F30060 1D82B1C0
	buffer_load_dwordx4 a[184:187], v91, s[24:27], 0 offen     // 00000000CE34: E05C1000 8086B85B
	v_mfma_f32_16x16x32_fp8_fp8 v[96:99], a[194:195], a[90:91], v[96:99]// 00000000CE3C: D3F30060 1D82B5C2
	v_mfma_f32_16x16x32_fp8_fp8 v[96:99], a[196:197], a[92:93], v[96:99]// 00000000CE44: D3F30060 1D82B9C4
	v_mfma_f32_16x16x32_fp8_fp8 v[96:99], a[198:199], a[94:95], v[96:99]// 00000000CE4C: D3F30060 1D82BDC6
	v_mfma_f32_16x16x32_fp8_fp8 v[136:139], a[200:201], a[88:89], v[136:139]// 00000000CE54: D3F30088 1E22B1C8
	buffer_load_dwordx4 a[188:191], v91, s[24:27], 0 offen offset:1024// 00000000CE5C: E05C1400 8086BC5B
	buffer_load_dword v70, s[20:23], 0 offen lds               // 00000000CE64: E0511000 80050046
	s_add_u32 m0, 0x100, s48                                   // 00000000CE6C: 807C30FF 00000100
	v_mfma_f32_16x16x32_fp8_fp8 v[136:139], a[202:203], a[90:91], v[136:139]// 00000000CE74: D3F30088 1E22B5CA
	v_mfma_f32_16x16x32_fp8_fp8 v[136:139], a[204:205], a[92:93], v[136:139]// 00000000CE7C: D3F30088 1E22B9CC
	buffer_load_dword v71, s[20:23], 0 offen lds               // 00000000CE84: E0511000 80050047
	s_add_u32 m0, 0x200, s48                                   // 00000000CE8C: 807C30FF 00000200
	v_mfma_f32_16x16x32_fp8_fp8 v[136:139], a[206:207], a[94:95], v[136:139]// 00000000CE94: D3F30088 1E22BDCE
	v_mfma_f32_16x16x32_fp8_fp8 v[100:103], a[192:193], a[96:97], v[100:103]// 00000000CE9C: D3F30064 1D92C1C0
	buffer_load_dword v72, s[20:23], 0 offen lds               // 00000000CEA4: E0511000 80050048
	s_add_u32 m0, 0x300, s48                                   // 00000000CEAC: 807C30FF 00000300
	v_mfma_f32_16x16x32_fp8_fp8 v[100:103], a[194:195], a[98:99], v[100:103]// 00000000CEB4: D3F30064 1D92C5C2
	v_mfma_f32_16x16x32_fp8_fp8 v[100:103], a[196:197], a[100:101], v[100:103]// 00000000CEBC: D3F30064 1D92C9C4
	buffer_load_dword v73, s[20:23], 0 offen lds               // 00000000CEC4: E0511000 80050049
	s_add_u32 m0, 0x400, s48                                   // 00000000CECC: 807C30FF 00000400
	v_mfma_f32_16x16x32_fp8_fp8 v[100:103], a[198:199], a[102:103], v[100:103]// 00000000CED4: D3F30064 1D92CDC6
	v_mfma_f32_16x16x32_fp8_fp8 v[140:143], a[200:201], a[96:97], v[140:143]// 00000000CEDC: D3F3008C 1E32C1C8
	buffer_load_dword v74, s[20:23], 0 offen lds               // 00000000CEE4: E0511000 8005004A
	s_add_u32 m0, 0x500, s48                                   // 00000000CEEC: 807C30FF 00000500
	v_mfma_f32_16x16x32_fp8_fp8 v[140:143], a[202:203], a[98:99], v[140:143]// 00000000CEF4: D3F3008C 1E32C5CA
	v_mfma_f32_16x16x32_fp8_fp8 v[140:143], a[204:205], a[100:101], v[140:143]// 00000000CEFC: D3F3008C 1E32C9CC
	buffer_load_dword v75, s[20:23], 0 offen lds               // 00000000CF04: E0511000 8005004B
	s_add_u32 m0, 0x600, s48                                   // 00000000CF0C: 807C30FF 00000600
	v_mfma_f32_16x16x32_fp8_fp8 v[140:143], a[206:207], a[102:103], v[140:143]// 00000000CF14: D3F3008C 1E32CDCE
	v_mfma_f32_16x16x32_fp8_fp8 v[104:107], a[192:193], a[104:105], v[104:107]// 00000000CF1C: D3F30068 1DA2D1C0
	buffer_load_dword v76, s[20:23], 0 offen lds               // 00000000CF24: E0511000 8005004C
	s_add_u32 m0, 0x700, s48                                   // 00000000CF2C: 807C30FF 00000700
	v_mfma_f32_16x16x32_fp8_fp8 v[104:107], a[194:195], a[106:107], v[104:107]// 00000000CF34: D3F30068 1DA2D5C2
	v_mfma_f32_16x16x32_fp8_fp8 v[104:107], a[196:197], a[108:109], v[104:107]// 00000000CF3C: D3F30068 1DA2D9C4
	buffer_load_dword v77, s[20:23], 0 offen lds               // 00000000CF44: E0511000 8005004D
	s_add_u32 m0, 0x800, s48                                   // 00000000CF4C: 807C30FF 00000800
	v_mfma_f32_16x16x32_fp8_fp8 v[104:107], a[198:199], a[110:111], v[104:107]// 00000000CF54: D3F30068 1DA2DDC6
	v_mfma_f32_16x16x32_fp8_fp8 v[144:147], a[200:201], a[104:105], v[144:147]// 00000000CF5C: D3F30090 1E42D1C8
	buffer_load_dword v78, s[20:23], 0 offen lds               // 00000000CF64: E0511000 8005004E
	s_add_u32 m0, 0x900, s48                                   // 00000000CF6C: 807C30FF 00000900
	v_mfma_f32_16x16x32_fp8_fp8 v[144:147], a[202:203], a[106:107], v[144:147]// 00000000CF74: D3F30090 1E42D5CA
	v_mfma_f32_16x16x32_fp8_fp8 v[144:147], a[204:205], a[108:109], v[144:147]// 00000000CF7C: D3F30090 1E42D9CC
	buffer_load_dword v79, s[20:23], 0 offen lds               // 00000000CF84: E0511000 8005004F
	s_add_u32 m0, 0xa00, s48                                   // 00000000CF8C: 807C30FF 00000A00
	v_mfma_f32_16x16x32_fp8_fp8 v[144:147], a[206:207], a[110:111], v[144:147]// 00000000CF94: D3F30090 1E42DDCE
	v_mfma_f32_16x16x32_fp8_fp8 v[108:111], a[192:193], a[112:113], v[108:111]// 00000000CF9C: D3F3006C 1DB2E1C0
	buffer_load_dword v80, s[20:23], 0 offen lds               // 00000000CFA4: E0511000 80050050
	s_add_u32 m0, 0xb00, s48                                   // 00000000CFAC: 807C30FF 00000B00
	v_mfma_f32_16x16x32_fp8_fp8 v[108:111], a[194:195], a[114:115], v[108:111]// 00000000CFB4: D3F3006C 1DB2E5C2
	v_mfma_f32_16x16x32_fp8_fp8 v[108:111], a[196:197], a[116:117], v[108:111]// 00000000CFBC: D3F3006C 1DB2E9C4
	buffer_load_dword v81, s[20:23], 0 offen lds               // 00000000CFC4: E0511000 80050051
	s_add_u32 m0, 0xc00, s48                                   // 00000000CFCC: 807C30FF 00000C00
	v_mfma_f32_16x16x32_fp8_fp8 v[108:111], a[198:199], a[118:119], v[108:111]// 00000000CFD4: D3F3006C 1DB2EDC6
	v_mfma_f32_16x16x32_fp8_fp8 v[148:151], a[200:201], a[112:113], v[148:151]// 00000000CFDC: D3F30094 1E52E1C8
	buffer_load_dword v82, s[20:23], 0 offen lds               // 00000000CFE4: E0511000 80050052
	s_add_u32 m0, 0xd00, s48                                   // 00000000CFEC: 807C30FF 00000D00
	v_mfma_f32_16x16x32_fp8_fp8 v[148:151], a[202:203], a[114:115], v[148:151]// 00000000CFF4: D3F30094 1E52E5CA
	v_mfma_f32_16x16x32_fp8_fp8 v[148:151], a[204:205], a[116:117], v[148:151]// 00000000CFFC: D3F30094 1E52E9CC
	buffer_load_dword v83, s[20:23], 0 offen lds               // 00000000D004: E0511000 80050053
	s_add_u32 m0, 0xe00, s48                                   // 00000000D00C: 807C30FF 00000E00
	v_mfma_f32_16x16x32_fp8_fp8 v[148:151], a[206:207], a[118:119], v[148:151]// 00000000D014: D3F30094 1E52EDCE
	v_mfma_f32_16x16x32_fp8_fp8 v[112:115], a[192:193], a[120:121], v[112:115]// 00000000D01C: D3F30070 1DC2F1C0
	buffer_load_dword v84, s[20:23], 0 offen lds               // 00000000D024: E0511000 80050054
	s_add_u32 m0, 0xf00, s48                                   // 00000000D02C: 807C30FF 00000F00
	v_mfma_f32_16x16x32_fp8_fp8 v[112:115], a[194:195], a[122:123], v[112:115]// 00000000D034: D3F30070 1DC2F5C2
	v_mfma_f32_16x16x32_fp8_fp8 v[112:115], a[196:197], a[124:125], v[112:115]// 00000000D03C: D3F30070 1DC2F9C4
	buffer_load_dword v85, s[20:23], 0 offen lds               // 00000000D044: E0511000 80050055
	s_add_u32 m0, 0x1000, s48                                  // 00000000D04C: 807C30FF 00001000
	v_mfma_f32_16x16x32_fp8_fp8 v[112:115], a[198:199], a[126:127], v[112:115]// 00000000D054: D3F30070 1DC2FDC6
	v_mfma_f32_16x16x32_fp8_fp8 v[152:155], a[200:201], a[120:121], v[152:155]// 00000000D05C: D3F30098 1E62F1C8
	buffer_load_dword v86, s[20:23], 0 offen lds               // 00000000D064: E0511000 80050056
	s_add_u32 m0, 0x1100, s48                                  // 00000000D06C: 807C30FF 00001100
	v_mfma_f32_16x16x32_fp8_fp8 v[152:155], a[202:203], a[122:123], v[152:155]// 00000000D074: D3F30098 1E62F5CA
	v_mfma_f32_16x16x32_fp8_fp8 v[152:155], a[204:205], a[124:125], v[152:155]// 00000000D07C: D3F30098 1E62F9CC
	buffer_load_dword v87, s[20:23], 0 offen lds               // 00000000D084: E0511000 80050057
	s_add_u32 m0, 0x1200, s48                                  // 00000000D08C: 807C30FF 00001200
	v_mfma_f32_16x16x32_fp8_fp8 v[152:155], a[206:207], a[126:127], v[152:155]// 00000000D094: D3F30098 1E62FDCE
	v_mfma_f32_16x16x32_fp8_fp8 v[116:119], a[192:193], a[128:129], v[116:119]// 00000000D09C: D3F30074 1DD301C0
	buffer_load_dword v88, s[20:23], 0 offen lds               // 00000000D0A4: E0511000 80050058
	s_add_u32 m0, 0x1300, s48                                  // 00000000D0AC: 807C30FF 00001300
	v_mfma_f32_16x16x32_fp8_fp8 v[116:119], a[194:195], a[130:131], v[116:119]// 00000000D0B4: D3F30074 1DD305C2
	v_mfma_f32_16x16x32_fp8_fp8 v[116:119], a[196:197], a[132:133], v[116:119]// 00000000D0BC: D3F30074 1DD309C4
	buffer_load_dword v89, s[20:23], 0 offen lds               // 00000000D0C4: E0511000 80050059
	s_add_u32 m0, 0, s49                                       // 00000000D0CC: 807C3180
	v_mfma_f32_16x16x32_fp8_fp8 v[116:119], a[198:199], a[134:135], v[116:119]// 00000000D0D0: D3F30074 1DD30DC6
	v_mfma_f32_16x16x32_fp8_fp8 v[156:159], a[200:201], a[128:129], v[156:159]// 00000000D0D8: D3F3009C 1E7301C8
	v_mfma_f32_16x16x32_fp8_fp8 v[156:159], a[202:203], a[130:131], v[156:159]// 00000000D0E0: D3F3009C 1E7305CA
	v_mfma_f32_16x16x32_fp8_fp8 v[156:159], a[204:205], a[132:133], v[156:159]// 00000000D0E8: D3F3009C 1E7309CC
	v_mfma_f32_16x16x32_fp8_fp8 v[156:159], a[206:207], a[134:135], v[156:159]// 00000000D0F0: D3F3009C 1E730DCE
	v_mfma_f32_16x16x32_fp8_fp8 v[120:123], a[192:193], a[136:137], v[120:123]// 00000000D0F8: D3F30078 1DE311C0
	v_mfma_f32_16x16x32_fp8_fp8 v[120:123], a[194:195], a[138:139], v[120:123]// 00000000D100: D3F30078 1DE315C2
	v_mfma_f32_16x16x32_fp8_fp8 v[120:123], a[196:197], a[140:141], v[120:123]// 00000000D108: D3F30078 1DE319C4
	v_mfma_f32_16x16x32_fp8_fp8 v[120:123], a[198:199], a[142:143], v[120:123]// 00000000D110: D3F30078 1DE31DC6
	v_mfma_f32_16x16x32_fp8_fp8 v[160:163], a[200:201], a[136:137], v[160:163]// 00000000D118: D3F300A0 1E8311C8
	v_mfma_f32_16x16x32_fp8_fp8 v[160:163], a[202:203], a[138:139], v[160:163]// 00000000D120: D3F300A0 1E8315CA
	v_mfma_f32_16x16x32_fp8_fp8 v[160:163], a[204:205], a[140:141], v[160:163]// 00000000D128: D3F300A0 1E8319CC
	v_mfma_f32_16x16x32_fp8_fp8 v[160:163], a[206:207], a[142:143], v[160:163]// 00000000D130: D3F300A0 1E831DCE
	v_mfma_f32_16x16x32_fp8_fp8 v[124:127], a[192:193], a[144:145], v[124:127]// 00000000D138: D3F3007C 1DF321C0
	v_mfma_f32_16x16x32_fp8_fp8 v[124:127], a[194:195], a[146:147], v[124:127]// 00000000D140: D3F3007C 1DF325C2
	v_mfma_f32_16x16x32_fp8_fp8 v[124:127], a[196:197], a[148:149], v[124:127]// 00000000D148: D3F3007C 1DF329C4
	v_mfma_f32_16x16x32_fp8_fp8 v[124:127], a[198:199], a[150:151], v[124:127]// 00000000D150: D3F3007C 1DF32DC6
	v_mfma_f32_16x16x32_fp8_fp8 v[164:167], a[200:201], a[144:145], v[164:167]// 00000000D158: D3F300A4 1E9321C8
	v_mfma_f32_16x16x32_fp8_fp8 v[164:167], a[202:203], a[146:147], v[164:167]// 00000000D160: D3F300A4 1E9325CA
	v_mfma_f32_16x16x32_fp8_fp8 v[164:167], a[204:205], a[148:149], v[164:167]// 00000000D168: D3F300A4 1E9329CC
	v_mfma_f32_16x16x32_fp8_fp8 v[164:167], a[206:207], a[150:151], v[164:167]// 00000000D170: D3F300A4 1E932DCE
	v_mfma_f32_16x16x32_fp8_fp8 v[128:131], a[192:193], a[152:153], v[128:131]// 00000000D178: D3F30080 1E0331C0
	v_mfma_f32_16x16x32_fp8_fp8 v[128:131], a[194:195], a[154:155], v[128:131]// 00000000D180: D3F30080 1E0335C2
	v_mfma_f32_16x16x32_fp8_fp8 v[128:131], a[196:197], a[156:157], v[128:131]// 00000000D188: D3F30080 1E0339C4
	v_mfma_f32_16x16x32_fp8_fp8 v[128:131], a[198:199], a[158:159], v[128:131]// 00000000D190: D3F30080 1E033DC6
	v_mfma_f32_16x16x32_fp8_fp8 v[168:171], a[200:201], a[152:153], v[168:171]// 00000000D198: D3F300A8 1EA331C8
	v_mfma_f32_16x16x32_fp8_fp8 v[168:171], a[202:203], a[154:155], v[168:171]// 00000000D1A0: D3F300A8 1EA335CA
	v_mfma_f32_16x16x32_fp8_fp8 v[168:171], a[204:205], a[156:157], v[168:171]// 00000000D1A8: D3F300A8 1EA339CC
	v_mfma_f32_16x16x32_fp8_fp8 v[168:171], a[206:207], a[158:159], v[168:171]// 00000000D1B0: D3F300A8 1EA33DCE
	s_waitcnt vmcnt(24)                                        // 00000000D1B8: BF8C4F78
	s_barrier                                                  // 00000000D1BC: BF8A0000
	v_mfma_f32_16x16x32_fp8_fp8 v[172:175], a[160:161], a[80:81], v[172:175]// 00000000D1C0: D3F300AC 1EB2A1A0
	buffer_load_dwordx4 a[192:195], v90, s[84:87], 0 offen     // 00000000D1C8: E05C1000 8095C05A
	v_mfma_f32_16x16x32_fp8_fp8 v[172:175], a[162:163], a[82:83], v[172:175]// 00000000D1D0: D3F300AC 1EB2A5A2
	v_mfma_f32_16x16x32_fp8_fp8 v[172:175], a[164:165], a[84:85], v[172:175]// 00000000D1D8: D3F300AC 1EB2A9A4
	ds_read_b128 a[0:3], v2 offset:41216                       // 00000000D1E0: DBFEA100 00000002
	ds_read_b128 a[4:7], v2 offset:41280                       // 00000000D1E8: DBFEA140 04000002
	v_mfma_f32_16x16x32_fp8_fp8 v[172:175], a[166:167], a[86:87], v[172:175]// 00000000D1F0: D3F300AC 1EB2ADA6
	v_mfma_f32_16x16x32_fp8_fp8 v[212:215], a[168:169], a[80:81], v[212:215]// 00000000D1F8: D3F300D4 1F52A1A8
	buffer_load_dwordx4 a[196:199], v90, s[84:87], 0 offen offset:1024// 00000000D200: E05C1400 8095C45A
	v_mfma_f32_16x16x32_fp8_fp8 v[212:215], a[170:171], a[82:83], v[212:215]// 00000000D208: D3F300D4 1F52A5AA
	v_mfma_f32_16x16x32_fp8_fp8 v[212:215], a[172:173], a[84:85], v[212:215]// 00000000D210: D3F300D4 1F52A9AC
	ds_read_b128 a[8:11], v2 offset:41728                      // 00000000D218: DBFEA300 08000002
	ds_read_b128 a[12:15], v2 offset:41792                     // 00000000D220: DBFEA340 0C000002
	v_mfma_f32_16x16x32_fp8_fp8 v[212:215], a[174:175], a[86:87], v[212:215]// 00000000D228: D3F300D4 1F52ADAE
	v_mfma_f32_16x16x32_fp8_fp8 v[176:179], a[160:161], a[88:89], v[176:179]// 00000000D230: D3F300B0 1EC2B1A0
	buffer_load_dwordx4 a[200:203], v91, s[84:87], 0 offen     // 00000000D238: E05C1000 8095C85B
	v_mfma_f32_16x16x32_fp8_fp8 v[176:179], a[162:163], a[90:91], v[176:179]// 00000000D240: D3F300B0 1EC2B5A2
	v_mfma_f32_16x16x32_fp8_fp8 v[176:179], a[164:165], a[92:93], v[176:179]// 00000000D248: D3F300B0 1EC2B9A4
	ds_read_b128 a[16:19], v2 offset:42240                     // 00000000D250: DBFEA500 10000002
	ds_read_b128 a[20:23], v2 offset:42304                     // 00000000D258: DBFEA540 14000002
	v_mfma_f32_16x16x32_fp8_fp8 v[176:179], a[166:167], a[94:95], v[176:179]// 00000000D260: D3F300B0 1EC2BDA6
	v_mfma_f32_16x16x32_fp8_fp8 v[216:219], a[168:169], a[88:89], v[216:219]// 00000000D268: D3F300D8 1F62B1A8
	buffer_load_dwordx4 a[204:207], v91, s[84:87], 0 offen offset:1024// 00000000D270: E05C1400 8095CC5B
	v_mfma_f32_16x16x32_fp8_fp8 v[216:219], a[170:171], a[90:91], v[216:219]// 00000000D278: D3F300D8 1F62B5AA
	v_mfma_f32_16x16x32_fp8_fp8 v[216:219], a[172:173], a[92:93], v[216:219]// 00000000D280: D3F300D8 1F62B9AC
	ds_read_b128 a[24:27], v2 offset:42752                     // 00000000D288: DBFEA700 18000002
	ds_read_b128 a[28:31], v2 offset:42816                     // 00000000D290: DBFEA740 1C000002
	v_mfma_f32_16x16x32_fp8_fp8 v[216:219], a[174:175], a[94:95], v[216:219]// 00000000D298: D3F300D8 1F62BDAE
	v_mfma_f32_16x16x32_fp8_fp8 v[180:183], a[160:161], a[96:97], v[180:183]// 00000000D2A0: D3F300B4 1ED2C1A0
	v_mfma_f32_16x16x32_fp8_fp8 v[180:183], a[162:163], a[98:99], v[180:183]// 00000000D2A8: D3F300B4 1ED2C5A2
	v_mfma_f32_16x16x32_fp8_fp8 v[180:183], a[164:165], a[100:101], v[180:183]// 00000000D2B0: D3F300B4 1ED2C9A4
	ds_read_b128 a[32:35], v2 offset:43264                     // 00000000D2B8: DBFEA900 20000002
	ds_read_b128 a[36:39], v2 offset:43328                     // 00000000D2C0: DBFEA940 24000002
	v_mfma_f32_16x16x32_fp8_fp8 v[180:183], a[166:167], a[102:103], v[180:183]// 00000000D2C8: D3F300B4 1ED2CDA6
	v_mfma_f32_16x16x32_fp8_fp8 v[220:223], a[168:169], a[96:97], v[220:223]// 00000000D2D0: D3F300DC 1F72C1A8
	v_mfma_f32_16x16x32_fp8_fp8 v[220:223], a[170:171], a[98:99], v[220:223]// 00000000D2D8: D3F300DC 1F72C5AA
	v_mfma_f32_16x16x32_fp8_fp8 v[220:223], a[172:173], a[100:101], v[220:223]// 00000000D2E0: D3F300DC 1F72C9AC
	ds_read_b128 a[40:43], v2 offset:43776                     // 00000000D2E8: DBFEAB00 28000002
	ds_read_b128 a[44:47], v2 offset:43840                     // 00000000D2F0: DBFEAB40 2C000002
	v_mfma_f32_16x16x32_fp8_fp8 v[220:223], a[174:175], a[102:103], v[220:223]// 00000000D2F8: D3F300DC 1F72CDAE
	v_mfma_f32_16x16x32_fp8_fp8 v[184:187], a[160:161], a[104:105], v[184:187]// 00000000D300: D3F300B8 1EE2D1A0
	v_mfma_f32_16x16x32_fp8_fp8 v[184:187], a[162:163], a[106:107], v[184:187]// 00000000D308: D3F300B8 1EE2D5A2
	v_mfma_f32_16x16x32_fp8_fp8 v[184:187], a[164:165], a[108:109], v[184:187]// 00000000D310: D3F300B8 1EE2D9A4
	ds_read_b128 a[48:51], v2 offset:44288                     // 00000000D318: DBFEAD00 30000002
	ds_read_b128 a[52:55], v2 offset:44352                     // 00000000D320: DBFEAD40 34000002
	v_mfma_f32_16x16x32_fp8_fp8 v[184:187], a[166:167], a[110:111], v[184:187]// 00000000D328: D3F300B8 1EE2DDA6
	v_mfma_f32_16x16x32_fp8_fp8 v[224:227], a[168:169], a[104:105], v[224:227]// 00000000D330: D3F300E0 1F82D1A8
	v_mfma_f32_16x16x32_fp8_fp8 v[224:227], a[170:171], a[106:107], v[224:227]// 00000000D338: D3F300E0 1F82D5AA
	v_mfma_f32_16x16x32_fp8_fp8 v[224:227], a[172:173], a[108:109], v[224:227]// 00000000D340: D3F300E0 1F82D9AC
	ds_read_b128 a[56:59], v2 offset:44800                     // 00000000D348: DBFEAF00 38000002
	ds_read_b128 a[60:63], v2 offset:44864                     // 00000000D350: DBFEAF40 3C000002
	v_mfma_f32_16x16x32_fp8_fp8 v[224:227], a[174:175], a[110:111], v[224:227]// 00000000D358: D3F300E0 1F82DDAE
	v_mfma_f32_16x16x32_fp8_fp8 v[188:191], a[160:161], a[112:113], v[188:191]// 00000000D360: D3F300BC 1EF2E1A0
	v_mfma_f32_16x16x32_fp8_fp8 v[188:191], a[162:163], a[114:115], v[188:191]// 00000000D368: D3F300BC 1EF2E5A2
	v_mfma_f32_16x16x32_fp8_fp8 v[188:191], a[164:165], a[116:117], v[188:191]// 00000000D370: D3F300BC 1EF2E9A4
	ds_read_b128 a[64:67], v2 offset:45312                     // 00000000D378: DBFEB100 40000002
	ds_read_b128 a[68:71], v2 offset:45376                     // 00000000D380: DBFEB140 44000002
	v_mfma_f32_16x16x32_fp8_fp8 v[188:191], a[166:167], a[118:119], v[188:191]// 00000000D388: D3F300BC 1EF2EDA6
	v_mfma_f32_16x16x32_fp8_fp8 v[228:231], a[168:169], a[112:113], v[228:231]// 00000000D390: D3F300E4 1F92E1A8
	v_mfma_f32_16x16x32_fp8_fp8 v[228:231], a[170:171], a[114:115], v[228:231]// 00000000D398: D3F300E4 1F92E5AA
	v_mfma_f32_16x16x32_fp8_fp8 v[228:231], a[172:173], a[116:117], v[228:231]// 00000000D3A0: D3F300E4 1F92E9AC
	ds_read_b128 a[72:75], v2 offset:45824                     // 00000000D3A8: DBFEB300 48000002
	ds_read_b128 a[76:79], v2 offset:45888                     // 00000000D3B0: DBFEB340 4C000002
	v_mfma_f32_16x16x32_fp8_fp8 v[228:231], a[174:175], a[118:119], v[228:231]// 00000000D3B8: D3F300E4 1F92EDAE
	v_mfma_f32_16x16x32_fp8_fp8 v[192:195], a[160:161], a[120:121], v[192:195]// 00000000D3C0: D3F300C0 1F02F1A0
	v_mfma_f32_16x16x32_fp8_fp8 v[192:195], a[162:163], a[122:123], v[192:195]// 00000000D3C8: D3F300C0 1F02F5A2
	v_mfma_f32_16x16x32_fp8_fp8 v[192:195], a[164:165], a[124:125], v[192:195]// 00000000D3D0: D3F300C0 1F02F9A4
	v_mfma_f32_16x16x32_fp8_fp8 v[192:195], a[166:167], a[126:127], v[192:195]// 00000000D3D8: D3F300C0 1F02FDA6
	v_mfma_f32_16x16x32_fp8_fp8 v[232:235], a[168:169], a[120:121], v[232:235]// 00000000D3E0: D3F300E8 1FA2F1A8
	v_mfma_f32_16x16x32_fp8_fp8 v[232:235], a[170:171], a[122:123], v[232:235]// 00000000D3E8: D3F300E8 1FA2F5AA
	v_mfma_f32_16x16x32_fp8_fp8 v[232:235], a[172:173], a[124:125], v[232:235]// 00000000D3F0: D3F300E8 1FA2F9AC
	v_mfma_f32_16x16x32_fp8_fp8 v[232:235], a[174:175], a[126:127], v[232:235]// 00000000D3F8: D3F300E8 1FA2FDAE
	v_mfma_f32_16x16x32_fp8_fp8 v[196:199], a[160:161], a[128:129], v[196:199]// 00000000D400: D3F300C4 1F1301A0
	v_mfma_f32_16x16x32_fp8_fp8 v[196:199], a[162:163], a[130:131], v[196:199]// 00000000D408: D3F300C4 1F1305A2
	v_mfma_f32_16x16x32_fp8_fp8 v[196:199], a[164:165], a[132:133], v[196:199]// 00000000D410: D3F300C4 1F1309A4
	v_mfma_f32_16x16x32_fp8_fp8 v[196:199], a[166:167], a[134:135], v[196:199]// 00000000D418: D3F300C4 1F130DA6
	v_mfma_f32_16x16x32_fp8_fp8 v[236:239], a[168:169], a[128:129], v[236:239]// 00000000D420: D3F300EC 1FB301A8
	v_mfma_f32_16x16x32_fp8_fp8 v[236:239], a[170:171], a[130:131], v[236:239]// 00000000D428: D3F300EC 1FB305AA
	v_mfma_f32_16x16x32_fp8_fp8 v[236:239], a[172:173], a[132:133], v[236:239]// 00000000D430: D3F300EC 1FB309AC
	v_mfma_f32_16x16x32_fp8_fp8 v[236:239], a[174:175], a[134:135], v[236:239]// 00000000D438: D3F300EC 1FB30DAE
	v_mfma_f32_16x16x32_fp8_fp8 v[200:203], a[160:161], a[136:137], v[200:203]// 00000000D440: D3F300C8 1F2311A0
	v_mfma_f32_16x16x32_fp8_fp8 v[200:203], a[162:163], a[138:139], v[200:203]// 00000000D448: D3F300C8 1F2315A2
	v_mfma_f32_16x16x32_fp8_fp8 v[200:203], a[164:165], a[140:141], v[200:203]// 00000000D450: D3F300C8 1F2319A4
	v_mfma_f32_16x16x32_fp8_fp8 v[200:203], a[166:167], a[142:143], v[200:203]// 00000000D458: D3F300C8 1F231DA6
	v_mfma_f32_16x16x32_fp8_fp8 v[240:243], a[168:169], a[136:137], v[240:243]// 00000000D460: D3F300F0 1FC311A8
	v_mfma_f32_16x16x32_fp8_fp8 v[240:243], a[170:171], a[138:139], v[240:243]// 00000000D468: D3F300F0 1FC315AA
	v_mfma_f32_16x16x32_fp8_fp8 v[240:243], a[172:173], a[140:141], v[240:243]// 00000000D470: D3F300F0 1FC319AC
	v_mfma_f32_16x16x32_fp8_fp8 v[240:243], a[174:175], a[142:143], v[240:243]// 00000000D478: D3F300F0 1FC31DAE
	v_mfma_f32_16x16x32_fp8_fp8 v[204:207], a[160:161], a[144:145], v[204:207]// 00000000D480: D3F300CC 1F3321A0
	v_mfma_f32_16x16x32_fp8_fp8 v[204:207], a[162:163], a[146:147], v[204:207]// 00000000D488: D3F300CC 1F3325A2
	v_mfma_f32_16x16x32_fp8_fp8 v[204:207], a[164:165], a[148:149], v[204:207]// 00000000D490: D3F300CC 1F3329A4
	v_mfma_f32_16x16x32_fp8_fp8 v[204:207], a[166:167], a[150:151], v[204:207]// 00000000D498: D3F300CC 1F332DA6
	v_mfma_f32_16x16x32_fp8_fp8 v[244:247], a[168:169], a[144:145], v[244:247]// 00000000D4A0: D3F300F4 1FD321A8
	v_mfma_f32_16x16x32_fp8_fp8 v[244:247], a[170:171], a[146:147], v[244:247]// 00000000D4A8: D3F300F4 1FD325AA
	v_mfma_f32_16x16x32_fp8_fp8 v[244:247], a[172:173], a[148:149], v[244:247]// 00000000D4B0: D3F300F4 1FD329AC
	v_mfma_f32_16x16x32_fp8_fp8 v[244:247], a[174:175], a[150:151], v[244:247]// 00000000D4B8: D3F300F4 1FD32DAE
	v_mfma_f32_16x16x32_fp8_fp8 v[208:211], a[160:161], a[152:153], v[208:211]// 00000000D4C0: D3F300D0 1F4331A0
	s_add_u32 s60, 0x180, s80                                  // 00000000D4C8: 803C50FF 00000180
	s_cmp_lt_u32 s60, s81                                      // 00000000D4D0: BF0A513C
	s_cselect_b32 s57, s57, 0                                  // 00000000D4D4: 85398039
	v_mfma_f32_16x16x32_fp8_fp8 v[208:211], a[162:163], a[154:155], v[208:211]// 00000000D4D8: D3F300D0 1F4335A2
	s_add_u32 s60, 0x100, s80                                  // 00000000D4E0: 803C50FF 00000100
	s_cmp_lt_u32 s60, s81                                      // 00000000D4E8: BF0A513C
	s_cselect_b32 s58, s58, 0                                  // 00000000D4EC: 853A803A
	v_mfma_f32_16x16x32_fp8_fp8 v[208:211], a[164:165], a[156:157], v[208:211]// 00000000D4F0: D3F300D0 1F4339A4
	s_add_u32 s60, 0x100, s80                                  // 00000000D4F8: 803C50FF 00000100
	s_cmp_lt_u32 s60, s81                                      // 00000000D500: BF0A513C
	s_cselect_b32 s83, s83, 0                                  // 00000000D504: 85538053
	v_mfma_f32_16x16x32_fp8_fp8 v[208:211], a[166:167], a[158:159], v[208:211]// 00000000D508: D3F300D0 1F433DA6
	s_add_u32 s24, s58, s24                                    // 00000000D510: 8018183A
	s_addc_u32 s25, 0, s25                                     // 00000000D514: 82191980
	v_mfma_f32_16x16x32_fp8_fp8 v[248:251], a[168:169], a[152:153], v[248:251]// 00000000D518: D3F300F8 1FE331A8
	s_add_u32 s20, s57, s20                                    // 00000000D520: 80141439
	s_addc_u32 s21, 0, s21                                     // 00000000D524: 82151580
	v_mfma_f32_16x16x32_fp8_fp8 v[248:251], a[170:171], a[154:155], v[248:251]// 00000000D528: D3F300F8 1FE335AA
	s_add_u32 s84, s83, s84                                    // 00000000D530: 80545453
	s_addc_u32 s85, 0, s85                                     // 00000000D534: 82555580
	v_mfma_f32_16x16x32_fp8_fp8 v[248:251], a[172:173], a[156:157], v[248:251]// 00000000D538: D3F300F8 1FE339AC
	v_mfma_f32_16x16x32_fp8_fp8 v[248:251], a[174:175], a[158:159], v[248:251]// 00000000D540: D3F300F8 1FE33DAE
	s_addk_i32 s80, 0x80                                       // 00000000D548: B7500080
	s_cmp_lt_i32 s80, s81                                      // 00000000D54C: BF045150
	s_cbranch_scc0 label_3255                                  // 00000000D550: BF84077D
	s_waitcnt vmcnt(24) lgkmcnt(0)                             // 00000000D554: BF8C4078
	v_mfma_f32_16x16x32_fp8_fp8 v[92:95], a[176:177], a[0:1], v[92:95]// 00000000D558: D3F3005C 1D7201B0
	buffer_load_dwordx4 a[160:163], v90, s[24:27], 0 offen     // 00000000D560: E05C1000 8086A05A
	v_mfma_f32_16x16x32_fp8_fp8 v[92:95], a[178:179], a[2:3], v[92:95]// 00000000D568: D3F3005C 1D7205B2
	v_mfma_f32_16x16x32_fp8_fp8 v[92:95], a[180:181], a[4:5], v[92:95]// 00000000D570: D3F3005C 1D7209B4
	v_mfma_f32_16x16x32_fp8_fp8 v[92:95], a[182:183], a[6:7], v[92:95]// 00000000D578: D3F3005C 1D720DB6
	v_mfma_f32_16x16x32_fp8_fp8 v[132:135], a[184:185], a[0:1], v[132:135]// 00000000D580: D3F30084 1E1201B8
	buffer_load_dwordx4 a[164:167], v90, s[24:27], 0 offen offset:1024// 00000000D588: E05C1400 8086A45A
	v_mfma_f32_16x16x32_fp8_fp8 v[132:135], a[186:187], a[2:3], v[132:135]// 00000000D590: D3F30084 1E1205BA
	v_mfma_f32_16x16x32_fp8_fp8 v[132:135], a[188:189], a[4:5], v[132:135]// 00000000D598: D3F30084 1E1209BC
	v_mfma_f32_16x16x32_fp8_fp8 v[132:135], a[190:191], a[6:7], v[132:135]// 00000000D5A0: D3F30084 1E120DBE
	v_mfma_f32_16x16x32_fp8_fp8 v[96:99], a[176:177], a[8:9], v[96:99]// 00000000D5A8: D3F30060 1D8211B0
	buffer_load_dwordx4 a[168:171], v91, s[24:27], 0 offen     // 00000000D5B0: E05C1000 8086A85B
	v_mfma_f32_16x16x32_fp8_fp8 v[96:99], a[178:179], a[10:11], v[96:99]// 00000000D5B8: D3F30060 1D8215B2
	v_mfma_f32_16x16x32_fp8_fp8 v[96:99], a[180:181], a[12:13], v[96:99]// 00000000D5C0: D3F30060 1D8219B4
	v_mfma_f32_16x16x32_fp8_fp8 v[96:99], a[182:183], a[14:15], v[96:99]// 00000000D5C8: D3F30060 1D821DB6
	v_mfma_f32_16x16x32_fp8_fp8 v[136:139], a[184:185], a[8:9], v[136:139]// 00000000D5D0: D3F30088 1E2211B8
	buffer_load_dwordx4 a[172:175], v91, s[24:27], 0 offen offset:1024// 00000000D5D8: E05C1400 8086AC5B
	buffer_load_dword v70, s[20:23], 0 offen lds               // 00000000D5E0: E0511000 80050046
	s_add_u32 m0, 0x100, s49                                   // 00000000D5E8: 807C31FF 00000100
	v_mfma_f32_16x16x32_fp8_fp8 v[136:139], a[186:187], a[10:11], v[136:139]// 00000000D5F0: D3F30088 1E2215BA
	v_mfma_f32_16x16x32_fp8_fp8 v[136:139], a[188:189], a[12:13], v[136:139]// 00000000D5F8: D3F30088 1E2219BC
	buffer_load_dword v71, s[20:23], 0 offen lds               // 00000000D600: E0511000 80050047
	s_add_u32 m0, 0x200, s49                                   // 00000000D608: 807C31FF 00000200
	v_mfma_f32_16x16x32_fp8_fp8 v[136:139], a[190:191], a[14:15], v[136:139]// 00000000D610: D3F30088 1E221DBE
	v_mfma_f32_16x16x32_fp8_fp8 v[100:103], a[176:177], a[16:17], v[100:103]// 00000000D618: D3F30064 1D9221B0
	buffer_load_dword v72, s[20:23], 0 offen lds               // 00000000D620: E0511000 80050048
	s_add_u32 m0, 0x300, s49                                   // 00000000D628: 807C31FF 00000300
	v_mfma_f32_16x16x32_fp8_fp8 v[100:103], a[178:179], a[18:19], v[100:103]// 00000000D630: D3F30064 1D9225B2
	v_mfma_f32_16x16x32_fp8_fp8 v[100:103], a[180:181], a[20:21], v[100:103]// 00000000D638: D3F30064 1D9229B4
	buffer_load_dword v73, s[20:23], 0 offen lds               // 00000000D640: E0511000 80050049
	s_add_u32 m0, 0x400, s49                                   // 00000000D648: 807C31FF 00000400
	v_mfma_f32_16x16x32_fp8_fp8 v[100:103], a[182:183], a[22:23], v[100:103]// 00000000D650: D3F30064 1D922DB6
	v_mfma_f32_16x16x32_fp8_fp8 v[140:143], a[184:185], a[16:17], v[140:143]// 00000000D658: D3F3008C 1E3221B8
	buffer_load_dword v74, s[20:23], 0 offen lds               // 00000000D660: E0511000 8005004A
	s_add_u32 m0, 0x500, s49                                   // 00000000D668: 807C31FF 00000500
	v_mfma_f32_16x16x32_fp8_fp8 v[140:143], a[186:187], a[18:19], v[140:143]// 00000000D670: D3F3008C 1E3225BA
	v_mfma_f32_16x16x32_fp8_fp8 v[140:143], a[188:189], a[20:21], v[140:143]// 00000000D678: D3F3008C 1E3229BC
	buffer_load_dword v75, s[20:23], 0 offen lds               // 00000000D680: E0511000 8005004B
	s_add_u32 m0, 0x600, s49                                   // 00000000D688: 807C31FF 00000600
	v_mfma_f32_16x16x32_fp8_fp8 v[140:143], a[190:191], a[22:23], v[140:143]// 00000000D690: D3F3008C 1E322DBE
	v_mfma_f32_16x16x32_fp8_fp8 v[104:107], a[176:177], a[24:25], v[104:107]// 00000000D698: D3F30068 1DA231B0
	buffer_load_dword v76, s[20:23], 0 offen lds               // 00000000D6A0: E0511000 8005004C
	s_add_u32 m0, 0x700, s49                                   // 00000000D6A8: 807C31FF 00000700
	v_mfma_f32_16x16x32_fp8_fp8 v[104:107], a[178:179], a[26:27], v[104:107]// 00000000D6B0: D3F30068 1DA235B2
	v_mfma_f32_16x16x32_fp8_fp8 v[104:107], a[180:181], a[28:29], v[104:107]// 00000000D6B8: D3F30068 1DA239B4
	buffer_load_dword v77, s[20:23], 0 offen lds               // 00000000D6C0: E0511000 8005004D
	s_add_u32 m0, 0x800, s49                                   // 00000000D6C8: 807C31FF 00000800
	v_mfma_f32_16x16x32_fp8_fp8 v[104:107], a[182:183], a[30:31], v[104:107]// 00000000D6D0: D3F30068 1DA23DB6
	v_mfma_f32_16x16x32_fp8_fp8 v[144:147], a[184:185], a[24:25], v[144:147]// 00000000D6D8: D3F30090 1E4231B8
	buffer_load_dword v78, s[20:23], 0 offen lds               // 00000000D6E0: E0511000 8005004E
	s_add_u32 m0, 0x900, s49                                   // 00000000D6E8: 807C31FF 00000900
	v_mfma_f32_16x16x32_fp8_fp8 v[144:147], a[186:187], a[26:27], v[144:147]// 00000000D6F0: D3F30090 1E4235BA
	v_mfma_f32_16x16x32_fp8_fp8 v[144:147], a[188:189], a[28:29], v[144:147]// 00000000D6F8: D3F30090 1E4239BC
	buffer_load_dword v79, s[20:23], 0 offen lds               // 00000000D700: E0511000 8005004F
	s_add_u32 m0, 0xa00, s49                                   // 00000000D708: 807C31FF 00000A00
	v_mfma_f32_16x16x32_fp8_fp8 v[144:147], a[190:191], a[30:31], v[144:147]// 00000000D710: D3F30090 1E423DBE
	v_mfma_f32_16x16x32_fp8_fp8 v[108:111], a[176:177], a[32:33], v[108:111]// 00000000D718: D3F3006C 1DB241B0
	buffer_load_dword v80, s[20:23], 0 offen lds               // 00000000D720: E0511000 80050050
	s_add_u32 m0, 0xb00, s49                                   // 00000000D728: 807C31FF 00000B00
	v_mfma_f32_16x16x32_fp8_fp8 v[108:111], a[178:179], a[34:35], v[108:111]// 00000000D730: D3F3006C 1DB245B2
	v_mfma_f32_16x16x32_fp8_fp8 v[108:111], a[180:181], a[36:37], v[108:111]// 00000000D738: D3F3006C 1DB249B4
	buffer_load_dword v81, s[20:23], 0 offen lds               // 00000000D740: E0511000 80050051
	s_add_u32 m0, 0xc00, s49                                   // 00000000D748: 807C31FF 00000C00
	v_mfma_f32_16x16x32_fp8_fp8 v[108:111], a[182:183], a[38:39], v[108:111]// 00000000D750: D3F3006C 1DB24DB6
	v_mfma_f32_16x16x32_fp8_fp8 v[148:151], a[184:185], a[32:33], v[148:151]// 00000000D758: D3F30094 1E5241B8
	buffer_load_dword v82, s[20:23], 0 offen lds               // 00000000D760: E0511000 80050052
	s_add_u32 m0, 0xd00, s49                                   // 00000000D768: 807C31FF 00000D00
	v_mfma_f32_16x16x32_fp8_fp8 v[148:151], a[186:187], a[34:35], v[148:151]// 00000000D770: D3F30094 1E5245BA
	v_mfma_f32_16x16x32_fp8_fp8 v[148:151], a[188:189], a[36:37], v[148:151]// 00000000D778: D3F30094 1E5249BC
	buffer_load_dword v83, s[20:23], 0 offen lds               // 00000000D780: E0511000 80050053
	s_add_u32 m0, 0xe00, s49                                   // 00000000D788: 807C31FF 00000E00
	v_mfma_f32_16x16x32_fp8_fp8 v[148:151], a[190:191], a[38:39], v[148:151]// 00000000D790: D3F30094 1E524DBE
	v_mfma_f32_16x16x32_fp8_fp8 v[112:115], a[176:177], a[40:41], v[112:115]// 00000000D798: D3F30070 1DC251B0
	buffer_load_dword v84, s[20:23], 0 offen lds               // 00000000D7A0: E0511000 80050054
	s_add_u32 m0, 0xf00, s49                                   // 00000000D7A8: 807C31FF 00000F00
	v_mfma_f32_16x16x32_fp8_fp8 v[112:115], a[178:179], a[42:43], v[112:115]// 00000000D7B0: D3F30070 1DC255B2
	v_mfma_f32_16x16x32_fp8_fp8 v[112:115], a[180:181], a[44:45], v[112:115]// 00000000D7B8: D3F30070 1DC259B4
	buffer_load_dword v85, s[20:23], 0 offen lds               // 00000000D7C0: E0511000 80050055
	s_add_u32 m0, 0x1000, s49                                  // 00000000D7C8: 807C31FF 00001000
	v_mfma_f32_16x16x32_fp8_fp8 v[112:115], a[182:183], a[46:47], v[112:115]// 00000000D7D0: D3F30070 1DC25DB6
	v_mfma_f32_16x16x32_fp8_fp8 v[152:155], a[184:185], a[40:41], v[152:155]// 00000000D7D8: D3F30098 1E6251B8
	buffer_load_dword v86, s[20:23], 0 offen lds               // 00000000D7E0: E0511000 80050056
	s_add_u32 m0, 0x1100, s49                                  // 00000000D7E8: 807C31FF 00001100
	v_mfma_f32_16x16x32_fp8_fp8 v[152:155], a[186:187], a[42:43], v[152:155]// 00000000D7F0: D3F30098 1E6255BA
	v_mfma_f32_16x16x32_fp8_fp8 v[152:155], a[188:189], a[44:45], v[152:155]// 00000000D7F8: D3F30098 1E6259BC
	buffer_load_dword v87, s[20:23], 0 offen lds               // 00000000D800: E0511000 80050057
	s_add_u32 m0, 0x1200, s49                                  // 00000000D808: 807C31FF 00001200
	v_mfma_f32_16x16x32_fp8_fp8 v[152:155], a[190:191], a[46:47], v[152:155]// 00000000D810: D3F30098 1E625DBE
	v_mfma_f32_16x16x32_fp8_fp8 v[116:119], a[176:177], a[48:49], v[116:119]// 00000000D818: D3F30074 1DD261B0
	buffer_load_dword v88, s[20:23], 0 offen lds               // 00000000D820: E0511000 80050058
	s_add_u32 m0, 0x1300, s49                                  // 00000000D828: 807C31FF 00001300
	v_mfma_f32_16x16x32_fp8_fp8 v[116:119], a[178:179], a[50:51], v[116:119]// 00000000D830: D3F30074 1DD265B2
	v_mfma_f32_16x16x32_fp8_fp8 v[116:119], a[180:181], a[52:53], v[116:119]// 00000000D838: D3F30074 1DD269B4
	buffer_load_dword v89, s[20:23], 0 offen lds               // 00000000D840: E0511000 80050059
	s_add_u32 m0, 0, s50                                       // 00000000D848: 807C3280
	v_mfma_f32_16x16x32_fp8_fp8 v[116:119], a[182:183], a[54:55], v[116:119]// 00000000D84C: D3F30074 1DD26DB6
	v_mfma_f32_16x16x32_fp8_fp8 v[156:159], a[184:185], a[48:49], v[156:159]// 00000000D854: D3F3009C 1E7261B8
	v_mfma_f32_16x16x32_fp8_fp8 v[156:159], a[186:187], a[50:51], v[156:159]// 00000000D85C: D3F3009C 1E7265BA
	v_mfma_f32_16x16x32_fp8_fp8 v[156:159], a[188:189], a[52:53], v[156:159]// 00000000D864: D3F3009C 1E7269BC
	v_mfma_f32_16x16x32_fp8_fp8 v[156:159], a[190:191], a[54:55], v[156:159]// 00000000D86C: D3F3009C 1E726DBE
	v_mfma_f32_16x16x32_fp8_fp8 v[120:123], a[176:177], a[56:57], v[120:123]// 00000000D874: D3F30078 1DE271B0
	v_mfma_f32_16x16x32_fp8_fp8 v[120:123], a[178:179], a[58:59], v[120:123]// 00000000D87C: D3F30078 1DE275B2
	v_mfma_f32_16x16x32_fp8_fp8 v[120:123], a[180:181], a[60:61], v[120:123]// 00000000D884: D3F30078 1DE279B4
	v_mfma_f32_16x16x32_fp8_fp8 v[120:123], a[182:183], a[62:63], v[120:123]// 00000000D88C: D3F30078 1DE27DB6
	v_mfma_f32_16x16x32_fp8_fp8 v[160:163], a[184:185], a[56:57], v[160:163]// 00000000D894: D3F300A0 1E8271B8
	v_mfma_f32_16x16x32_fp8_fp8 v[160:163], a[186:187], a[58:59], v[160:163]// 00000000D89C: D3F300A0 1E8275BA
	v_mfma_f32_16x16x32_fp8_fp8 v[160:163], a[188:189], a[60:61], v[160:163]// 00000000D8A4: D3F300A0 1E8279BC
	v_mfma_f32_16x16x32_fp8_fp8 v[160:163], a[190:191], a[62:63], v[160:163]// 00000000D8AC: D3F300A0 1E827DBE
	v_mfma_f32_16x16x32_fp8_fp8 v[124:127], a[176:177], a[64:65], v[124:127]// 00000000D8B4: D3F3007C 1DF281B0
	v_mfma_f32_16x16x32_fp8_fp8 v[124:127], a[178:179], a[66:67], v[124:127]// 00000000D8BC: D3F3007C 1DF285B2
	v_mfma_f32_16x16x32_fp8_fp8 v[124:127], a[180:181], a[68:69], v[124:127]// 00000000D8C4: D3F3007C 1DF289B4
	v_mfma_f32_16x16x32_fp8_fp8 v[124:127], a[182:183], a[70:71], v[124:127]// 00000000D8CC: D3F3007C 1DF28DB6
	v_mfma_f32_16x16x32_fp8_fp8 v[164:167], a[184:185], a[64:65], v[164:167]// 00000000D8D4: D3F300A4 1E9281B8
	v_mfma_f32_16x16x32_fp8_fp8 v[164:167], a[186:187], a[66:67], v[164:167]// 00000000D8DC: D3F300A4 1E9285BA
	v_mfma_f32_16x16x32_fp8_fp8 v[164:167], a[188:189], a[68:69], v[164:167]// 00000000D8E4: D3F300A4 1E9289BC
	v_mfma_f32_16x16x32_fp8_fp8 v[164:167], a[190:191], a[70:71], v[164:167]// 00000000D8EC: D3F300A4 1E928DBE
	v_mfma_f32_16x16x32_fp8_fp8 v[128:131], a[176:177], a[72:73], v[128:131]// 00000000D8F4: D3F30080 1E0291B0
	v_mfma_f32_16x16x32_fp8_fp8 v[128:131], a[178:179], a[74:75], v[128:131]// 00000000D8FC: D3F30080 1E0295B2
	v_mfma_f32_16x16x32_fp8_fp8 v[128:131], a[180:181], a[76:77], v[128:131]// 00000000D904: D3F30080 1E0299B4
	v_mfma_f32_16x16x32_fp8_fp8 v[128:131], a[182:183], a[78:79], v[128:131]// 00000000D90C: D3F30080 1E029DB6
	v_mfma_f32_16x16x32_fp8_fp8 v[168:171], a[184:185], a[72:73], v[168:171]// 00000000D914: D3F300A8 1EA291B8
	v_mfma_f32_16x16x32_fp8_fp8 v[168:171], a[186:187], a[74:75], v[168:171]// 00000000D91C: D3F300A8 1EA295BA
	v_mfma_f32_16x16x32_fp8_fp8 v[168:171], a[188:189], a[76:77], v[168:171]// 00000000D924: D3F300A8 1EA299BC
	v_mfma_f32_16x16x32_fp8_fp8 v[168:171], a[190:191], a[78:79], v[168:171]// 00000000D92C: D3F300A8 1EA29DBE
	s_waitcnt vmcnt(24)                                        // 00000000D934: BF8C4F78
	s_barrier                                                  // 00000000D938: BF8A0000
	v_mfma_f32_16x16x32_fp8_fp8 v[172:175], a[192:193], a[0:1], v[172:175]// 00000000D93C: D3F300AC 1EB201C0
	buffer_load_dwordx4 a[176:179], v90, s[84:87], 0 offen     // 00000000D944: E05C1000 8095B05A
	v_mfma_f32_16x16x32_fp8_fp8 v[172:175], a[194:195], a[2:3], v[172:175]// 00000000D94C: D3F300AC 1EB205C2
	v_mfma_f32_16x16x32_fp8_fp8 v[172:175], a[196:197], a[4:5], v[172:175]// 00000000D954: D3F300AC 1EB209C4
	ds_read_b128 a[80:83], v2                                  // 00000000D95C: DBFE0000 50000002
	ds_read_b128 a[84:87], v2 offset:64                        // 00000000D964: DBFE0040 54000002
	v_mfma_f32_16x16x32_fp8_fp8 v[172:175], a[198:199], a[6:7], v[172:175]// 00000000D96C: D3F300AC 1EB20DC6
	v_mfma_f32_16x16x32_fp8_fp8 v[212:215], a[200:201], a[0:1], v[212:215]// 00000000D974: D3F300D4 1F5201C8
	buffer_load_dwordx4 a[180:183], v90, s[84:87], 0 offen offset:1024// 00000000D97C: E05C1400 8095B45A
	v_mfma_f32_16x16x32_fp8_fp8 v[212:215], a[202:203], a[2:3], v[212:215]// 00000000D984: D3F300D4 1F5205CA
	v_mfma_f32_16x16x32_fp8_fp8 v[212:215], a[204:205], a[4:5], v[212:215]// 00000000D98C: D3F300D4 1F5209CC
	ds_read_b128 a[88:91], v2 offset:512                       // 00000000D994: DBFE0200 58000002
	ds_read_b128 a[92:95], v2 offset:576                       // 00000000D99C: DBFE0240 5C000002
	v_mfma_f32_16x16x32_fp8_fp8 v[212:215], a[206:207], a[6:7], v[212:215]// 00000000D9A4: D3F300D4 1F520DCE
	v_mfma_f32_16x16x32_fp8_fp8 v[176:179], a[192:193], a[8:9], v[176:179]// 00000000D9AC: D3F300B0 1EC211C0
	buffer_load_dwordx4 a[184:187], v91, s[84:87], 0 offen     // 00000000D9B4: E05C1000 8095B85B
	v_mfma_f32_16x16x32_fp8_fp8 v[176:179], a[194:195], a[10:11], v[176:179]// 00000000D9BC: D3F300B0 1EC215C2
	v_mfma_f32_16x16x32_fp8_fp8 v[176:179], a[196:197], a[12:13], v[176:179]// 00000000D9C4: D3F300B0 1EC219C4
	ds_read_b128 a[96:99], v2 offset:1024                      // 00000000D9CC: DBFE0400 60000002
	ds_read_b128 a[100:103], v2 offset:1088                    // 00000000D9D4: DBFE0440 64000002
	v_mfma_f32_16x16x32_fp8_fp8 v[176:179], a[198:199], a[14:15], v[176:179]// 00000000D9DC: D3F300B0 1EC21DC6
	v_mfma_f32_16x16x32_fp8_fp8 v[216:219], a[200:201], a[8:9], v[216:219]// 00000000D9E4: D3F300D8 1F6211C8
	buffer_load_dwordx4 a[188:191], v91, s[84:87], 0 offen offset:1024// 00000000D9EC: E05C1400 8095BC5B
	v_mfma_f32_16x16x32_fp8_fp8 v[216:219], a[202:203], a[10:11], v[216:219]// 00000000D9F4: D3F300D8 1F6215CA
	v_mfma_f32_16x16x32_fp8_fp8 v[216:219], a[204:205], a[12:13], v[216:219]// 00000000D9FC: D3F300D8 1F6219CC
	ds_read_b128 a[104:107], v2 offset:1536                    // 00000000DA04: DBFE0600 68000002
	ds_read_b128 a[108:111], v2 offset:1600                    // 00000000DA0C: DBFE0640 6C000002
	v_mfma_f32_16x16x32_fp8_fp8 v[216:219], a[206:207], a[14:15], v[216:219]// 00000000DA14: D3F300D8 1F621DCE
	v_mfma_f32_16x16x32_fp8_fp8 v[180:183], a[192:193], a[16:17], v[180:183]// 00000000DA1C: D3F300B4 1ED221C0
	v_mfma_f32_16x16x32_fp8_fp8 v[180:183], a[194:195], a[18:19], v[180:183]// 00000000DA24: D3F300B4 1ED225C2
	v_mfma_f32_16x16x32_fp8_fp8 v[180:183], a[196:197], a[20:21], v[180:183]// 00000000DA2C: D3F300B4 1ED229C4
	ds_read_b128 a[112:115], v2 offset:2048                    // 00000000DA34: DBFE0800 70000002
	ds_read_b128 a[116:119], v2 offset:2112                    // 00000000DA3C: DBFE0840 74000002
	v_mfma_f32_16x16x32_fp8_fp8 v[180:183], a[198:199], a[22:23], v[180:183]// 00000000DA44: D3F300B4 1ED22DC6
	v_mfma_f32_16x16x32_fp8_fp8 v[220:223], a[200:201], a[16:17], v[220:223]// 00000000DA4C: D3F300DC 1F7221C8
	v_mfma_f32_16x16x32_fp8_fp8 v[220:223], a[202:203], a[18:19], v[220:223]// 00000000DA54: D3F300DC 1F7225CA
	v_mfma_f32_16x16x32_fp8_fp8 v[220:223], a[204:205], a[20:21], v[220:223]// 00000000DA5C: D3F300DC 1F7229CC
	ds_read_b128 a[120:123], v2 offset:2560                    // 00000000DA64: DBFE0A00 78000002
	ds_read_b128 a[124:127], v2 offset:2624                    // 00000000DA6C: DBFE0A40 7C000002
	v_mfma_f32_16x16x32_fp8_fp8 v[220:223], a[206:207], a[22:23], v[220:223]// 00000000DA74: D3F300DC 1F722DCE
	v_mfma_f32_16x16x32_fp8_fp8 v[184:187], a[192:193], a[24:25], v[184:187]// 00000000DA7C: D3F300B8 1EE231C0
	v_mfma_f32_16x16x32_fp8_fp8 v[184:187], a[194:195], a[26:27], v[184:187]// 00000000DA84: D3F300B8 1EE235C2
	v_mfma_f32_16x16x32_fp8_fp8 v[184:187], a[196:197], a[28:29], v[184:187]// 00000000DA8C: D3F300B8 1EE239C4
	ds_read_b128 a[128:131], v2 offset:3072                    // 00000000DA94: DBFE0C00 80000002
	ds_read_b128 a[132:135], v2 offset:3136                    // 00000000DA9C: DBFE0C40 84000002
	v_mfma_f32_16x16x32_fp8_fp8 v[184:187], a[198:199], a[30:31], v[184:187]// 00000000DAA4: D3F300B8 1EE23DC6
	v_mfma_f32_16x16x32_fp8_fp8 v[224:227], a[200:201], a[24:25], v[224:227]// 00000000DAAC: D3F300E0 1F8231C8
	v_mfma_f32_16x16x32_fp8_fp8 v[224:227], a[202:203], a[26:27], v[224:227]// 00000000DAB4: D3F300E0 1F8235CA
	v_mfma_f32_16x16x32_fp8_fp8 v[224:227], a[204:205], a[28:29], v[224:227]// 00000000DABC: D3F300E0 1F8239CC
	ds_read_b128 a[136:139], v2 offset:3584                    // 00000000DAC4: DBFE0E00 88000002
	ds_read_b128 a[140:143], v2 offset:3648                    // 00000000DACC: DBFE0E40 8C000002
	v_mfma_f32_16x16x32_fp8_fp8 v[224:227], a[206:207], a[30:31], v[224:227]// 00000000DAD4: D3F300E0 1F823DCE
	v_mfma_f32_16x16x32_fp8_fp8 v[188:191], a[192:193], a[32:33], v[188:191]// 00000000DADC: D3F300BC 1EF241C0
	v_mfma_f32_16x16x32_fp8_fp8 v[188:191], a[194:195], a[34:35], v[188:191]// 00000000DAE4: D3F300BC 1EF245C2
	v_mfma_f32_16x16x32_fp8_fp8 v[188:191], a[196:197], a[36:37], v[188:191]// 00000000DAEC: D3F300BC 1EF249C4
	ds_read_b128 a[144:147], v2 offset:4096                    // 00000000DAF4: DBFE1000 90000002
	ds_read_b128 a[148:151], v2 offset:4160                    // 00000000DAFC: DBFE1040 94000002
	v_mfma_f32_16x16x32_fp8_fp8 v[188:191], a[198:199], a[38:39], v[188:191]// 00000000DB04: D3F300BC 1EF24DC6
	v_mfma_f32_16x16x32_fp8_fp8 v[228:231], a[200:201], a[32:33], v[228:231]// 00000000DB0C: D3F300E4 1F9241C8
	v_mfma_f32_16x16x32_fp8_fp8 v[228:231], a[202:203], a[34:35], v[228:231]// 00000000DB14: D3F300E4 1F9245CA
	v_mfma_f32_16x16x32_fp8_fp8 v[228:231], a[204:205], a[36:37], v[228:231]// 00000000DB1C: D3F300E4 1F9249CC
	ds_read_b128 a[152:155], v2 offset:4608                    // 00000000DB24: DBFE1200 98000002
	ds_read_b128 a[156:159], v2 offset:4672                    // 00000000DB2C: DBFE1240 9C000002
	v_mfma_f32_16x16x32_fp8_fp8 v[228:231], a[206:207], a[38:39], v[228:231]// 00000000DB34: D3F300E4 1F924DCE
	v_mfma_f32_16x16x32_fp8_fp8 v[192:195], a[192:193], a[40:41], v[192:195]// 00000000DB3C: D3F300C0 1F0251C0
	v_mfma_f32_16x16x32_fp8_fp8 v[192:195], a[194:195], a[42:43], v[192:195]// 00000000DB44: D3F300C0 1F0255C2
	v_mfma_f32_16x16x32_fp8_fp8 v[192:195], a[196:197], a[44:45], v[192:195]// 00000000DB4C: D3F300C0 1F0259C4
	v_mfma_f32_16x16x32_fp8_fp8 v[192:195], a[198:199], a[46:47], v[192:195]// 00000000DB54: D3F300C0 1F025DC6
	v_mfma_f32_16x16x32_fp8_fp8 v[232:235], a[200:201], a[40:41], v[232:235]// 00000000DB5C: D3F300E8 1FA251C8
	v_mfma_f32_16x16x32_fp8_fp8 v[232:235], a[202:203], a[42:43], v[232:235]// 00000000DB64: D3F300E8 1FA255CA
	v_mfma_f32_16x16x32_fp8_fp8 v[232:235], a[204:205], a[44:45], v[232:235]// 00000000DB6C: D3F300E8 1FA259CC
	v_mfma_f32_16x16x32_fp8_fp8 v[232:235], a[206:207], a[46:47], v[232:235]// 00000000DB74: D3F300E8 1FA25DCE
	v_mfma_f32_16x16x32_fp8_fp8 v[196:199], a[192:193], a[48:49], v[196:199]// 00000000DB7C: D3F300C4 1F1261C0
	v_mfma_f32_16x16x32_fp8_fp8 v[196:199], a[194:195], a[50:51], v[196:199]// 00000000DB84: D3F300C4 1F1265C2
	v_mfma_f32_16x16x32_fp8_fp8 v[196:199], a[196:197], a[52:53], v[196:199]// 00000000DB8C: D3F300C4 1F1269C4
	v_mfma_f32_16x16x32_fp8_fp8 v[196:199], a[198:199], a[54:55], v[196:199]// 00000000DB94: D3F300C4 1F126DC6
	v_mfma_f32_16x16x32_fp8_fp8 v[236:239], a[200:201], a[48:49], v[236:239]// 00000000DB9C: D3F300EC 1FB261C8
	v_mfma_f32_16x16x32_fp8_fp8 v[236:239], a[202:203], a[50:51], v[236:239]// 00000000DBA4: D3F300EC 1FB265CA
	v_mfma_f32_16x16x32_fp8_fp8 v[236:239], a[204:205], a[52:53], v[236:239]// 00000000DBAC: D3F300EC 1FB269CC
	v_mfma_f32_16x16x32_fp8_fp8 v[236:239], a[206:207], a[54:55], v[236:239]// 00000000DBB4: D3F300EC 1FB26DCE
	v_mfma_f32_16x16x32_fp8_fp8 v[200:203], a[192:193], a[56:57], v[200:203]// 00000000DBBC: D3F300C8 1F2271C0
	v_mfma_f32_16x16x32_fp8_fp8 v[200:203], a[194:195], a[58:59], v[200:203]// 00000000DBC4: D3F300C8 1F2275C2
	v_mfma_f32_16x16x32_fp8_fp8 v[200:203], a[196:197], a[60:61], v[200:203]// 00000000DBCC: D3F300C8 1F2279C4
	v_mfma_f32_16x16x32_fp8_fp8 v[200:203], a[198:199], a[62:63], v[200:203]// 00000000DBD4: D3F300C8 1F227DC6
	v_mfma_f32_16x16x32_fp8_fp8 v[240:243], a[200:201], a[56:57], v[240:243]// 00000000DBDC: D3F300F0 1FC271C8
	v_mfma_f32_16x16x32_fp8_fp8 v[240:243], a[202:203], a[58:59], v[240:243]// 00000000DBE4: D3F300F0 1FC275CA
	v_mfma_f32_16x16x32_fp8_fp8 v[240:243], a[204:205], a[60:61], v[240:243]// 00000000DBEC: D3F300F0 1FC279CC
	v_mfma_f32_16x16x32_fp8_fp8 v[240:243], a[206:207], a[62:63], v[240:243]// 00000000DBF4: D3F300F0 1FC27DCE
	v_mfma_f32_16x16x32_fp8_fp8 v[204:207], a[192:193], a[64:65], v[204:207]// 00000000DBFC: D3F300CC 1F3281C0
	v_mfma_f32_16x16x32_fp8_fp8 v[204:207], a[194:195], a[66:67], v[204:207]// 00000000DC04: D3F300CC 1F3285C2
	v_mfma_f32_16x16x32_fp8_fp8 v[204:207], a[196:197], a[68:69], v[204:207]// 00000000DC0C: D3F300CC 1F3289C4
	v_mfma_f32_16x16x32_fp8_fp8 v[204:207], a[198:199], a[70:71], v[204:207]// 00000000DC14: D3F300CC 1F328DC6
	v_mfma_f32_16x16x32_fp8_fp8 v[244:247], a[200:201], a[64:65], v[244:247]// 00000000DC1C: D3F300F4 1FD281C8
	v_mfma_f32_16x16x32_fp8_fp8 v[244:247], a[202:203], a[66:67], v[244:247]// 00000000DC24: D3F300F4 1FD285CA
	v_mfma_f32_16x16x32_fp8_fp8 v[244:247], a[204:205], a[68:69], v[244:247]// 00000000DC2C: D3F300F4 1FD289CC
	v_mfma_f32_16x16x32_fp8_fp8 v[244:247], a[206:207], a[70:71], v[244:247]// 00000000DC34: D3F300F4 1FD28DCE
	v_mfma_f32_16x16x32_fp8_fp8 v[208:211], a[192:193], a[72:73], v[208:211]// 00000000DC3C: D3F300D0 1F4291C0
	s_add_u32 s60, 0x180, s80                                  // 00000000DC44: 803C50FF 00000180
	s_cmp_lt_u32 s60, s81                                      // 00000000DC4C: BF0A513C
	s_cselect_b32 s57, s57, 0                                  // 00000000DC50: 85398039
	v_mfma_f32_16x16x32_fp8_fp8 v[208:211], a[194:195], a[74:75], v[208:211]// 00000000DC54: D3F300D0 1F4295C2
	s_add_u32 s60, 0x100, s80                                  // 00000000DC5C: 803C50FF 00000100
	s_cmp_lt_u32 s60, s81                                      // 00000000DC64: BF0A513C
	s_cselect_b32 s58, s58, 0                                  // 00000000DC68: 853A803A
	v_mfma_f32_16x16x32_fp8_fp8 v[208:211], a[196:197], a[76:77], v[208:211]// 00000000DC6C: D3F300D0 1F4299C4
	s_add_u32 s60, 0x100, s80                                  // 00000000DC74: 803C50FF 00000100
	s_cmp_lt_u32 s60, s81                                      // 00000000DC7C: BF0A513C
	s_cselect_b32 s83, s83, 0                                  // 00000000DC80: 85538053
	v_mfma_f32_16x16x32_fp8_fp8 v[208:211], a[198:199], a[78:79], v[208:211]// 00000000DC84: D3F300D0 1F429DC6
	s_add_u32 s24, s58, s24                                    // 00000000DC8C: 8018183A
	s_addc_u32 s25, 0, s25                                     // 00000000DC90: 82191980
	v_mfma_f32_16x16x32_fp8_fp8 v[248:251], a[200:201], a[72:73], v[248:251]// 00000000DC94: D3F300F8 1FE291C8
	s_add_u32 s20, s57, s20                                    // 00000000DC9C: 80141439
	s_addc_u32 s21, 0, s21                                     // 00000000DCA0: 82151580
	v_mfma_f32_16x16x32_fp8_fp8 v[248:251], a[202:203], a[74:75], v[248:251]// 00000000DCA4: D3F300F8 1FE295CA
	s_add_u32 s84, s83, s84                                    // 00000000DCAC: 80545453
	s_addc_u32 s85, 0, s85                                     // 00000000DCB0: 82555580
	v_mfma_f32_16x16x32_fp8_fp8 v[248:251], a[204:205], a[76:77], v[248:251]// 00000000DCB4: D3F300F8 1FE299CC
	v_mfma_f32_16x16x32_fp8_fp8 v[248:251], a[206:207], a[78:79], v[248:251]// 00000000DCBC: D3F300F8 1FE29DCE
	s_addk_i32 s80, 0x80                                       // 00000000DCC4: B7500080
	s_cmp_lt_i32 s80, s81                                      // 00000000DCC8: BF045150
	s_cbranch_scc0 label_3255                                  // 00000000DCCC: BF84059E
	s_waitcnt vmcnt(24) lgkmcnt(0)                             // 00000000DCD0: BF8C4078
	v_mfma_f32_16x16x32_fp8_fp8 v[92:95], a[160:161], a[80:81], v[92:95]// 00000000DCD4: D3F3005C 1D72A1A0
	buffer_load_dwordx4 a[192:195], v90, s[24:27], 0 offen     // 00000000DCDC: E05C1000 8086C05A
	v_mfma_f32_16x16x32_fp8_fp8 v[92:95], a[162:163], a[82:83], v[92:95]// 00000000DCE4: D3F3005C 1D72A5A2
	v_mfma_f32_16x16x32_fp8_fp8 v[92:95], a[164:165], a[84:85], v[92:95]// 00000000DCEC: D3F3005C 1D72A9A4
	v_mfma_f32_16x16x32_fp8_fp8 v[92:95], a[166:167], a[86:87], v[92:95]// 00000000DCF4: D3F3005C 1D72ADA6
	v_mfma_f32_16x16x32_fp8_fp8 v[132:135], a[168:169], a[80:81], v[132:135]// 00000000DCFC: D3F30084 1E12A1A8
	buffer_load_dwordx4 a[196:199], v90, s[24:27], 0 offen offset:1024// 00000000DD04: E05C1400 8086C45A
	v_mfma_f32_16x16x32_fp8_fp8 v[132:135], a[170:171], a[82:83], v[132:135]// 00000000DD0C: D3F30084 1E12A5AA
	v_mfma_f32_16x16x32_fp8_fp8 v[132:135], a[172:173], a[84:85], v[132:135]// 00000000DD14: D3F30084 1E12A9AC
	v_mfma_f32_16x16x32_fp8_fp8 v[132:135], a[174:175], a[86:87], v[132:135]// 00000000DD1C: D3F30084 1E12ADAE
	v_mfma_f32_16x16x32_fp8_fp8 v[96:99], a[160:161], a[88:89], v[96:99]// 00000000DD24: D3F30060 1D82B1A0
	buffer_load_dwordx4 a[200:203], v91, s[24:27], 0 offen     // 00000000DD2C: E05C1000 8086C85B
	v_mfma_f32_16x16x32_fp8_fp8 v[96:99], a[162:163], a[90:91], v[96:99]// 00000000DD34: D3F30060 1D82B5A2
	v_mfma_f32_16x16x32_fp8_fp8 v[96:99], a[164:165], a[92:93], v[96:99]// 00000000DD3C: D3F30060 1D82B9A4
	v_mfma_f32_16x16x32_fp8_fp8 v[96:99], a[166:167], a[94:95], v[96:99]// 00000000DD44: D3F30060 1D82BDA6
	v_mfma_f32_16x16x32_fp8_fp8 v[136:139], a[168:169], a[88:89], v[136:139]// 00000000DD4C: D3F30088 1E22B1A8
	buffer_load_dwordx4 a[204:207], v91, s[24:27], 0 offen offset:1024// 00000000DD54: E05C1400 8086CC5B
	buffer_load_dword v70, s[20:23], 0 offen lds               // 00000000DD5C: E0511000 80050046
	s_add_u32 m0, 0x100, s50                                   // 00000000DD64: 807C32FF 00000100
	v_mfma_f32_16x16x32_fp8_fp8 v[136:139], a[170:171], a[90:91], v[136:139]// 00000000DD6C: D3F30088 1E22B5AA
	v_mfma_f32_16x16x32_fp8_fp8 v[136:139], a[172:173], a[92:93], v[136:139]// 00000000DD74: D3F30088 1E22B9AC
	buffer_load_dword v71, s[20:23], 0 offen lds               // 00000000DD7C: E0511000 80050047
	s_add_u32 m0, 0x200, s50                                   // 00000000DD84: 807C32FF 00000200
	v_mfma_f32_16x16x32_fp8_fp8 v[136:139], a[174:175], a[94:95], v[136:139]// 00000000DD8C: D3F30088 1E22BDAE
	v_mfma_f32_16x16x32_fp8_fp8 v[100:103], a[160:161], a[96:97], v[100:103]// 00000000DD94: D3F30064 1D92C1A0
	buffer_load_dword v72, s[20:23], 0 offen lds               // 00000000DD9C: E0511000 80050048
	s_add_u32 m0, 0x300, s50                                   // 00000000DDA4: 807C32FF 00000300
	v_mfma_f32_16x16x32_fp8_fp8 v[100:103], a[162:163], a[98:99], v[100:103]// 00000000DDAC: D3F30064 1D92C5A2
	v_mfma_f32_16x16x32_fp8_fp8 v[100:103], a[164:165], a[100:101], v[100:103]// 00000000DDB4: D3F30064 1D92C9A4
	buffer_load_dword v73, s[20:23], 0 offen lds               // 00000000DDBC: E0511000 80050049
	s_add_u32 m0, 0x400, s50                                   // 00000000DDC4: 807C32FF 00000400
	v_mfma_f32_16x16x32_fp8_fp8 v[100:103], a[166:167], a[102:103], v[100:103]// 00000000DDCC: D3F30064 1D92CDA6
	v_mfma_f32_16x16x32_fp8_fp8 v[140:143], a[168:169], a[96:97], v[140:143]// 00000000DDD4: D3F3008C 1E32C1A8
	buffer_load_dword v74, s[20:23], 0 offen lds               // 00000000DDDC: E0511000 8005004A
	s_add_u32 m0, 0x500, s50                                   // 00000000DDE4: 807C32FF 00000500
	v_mfma_f32_16x16x32_fp8_fp8 v[140:143], a[170:171], a[98:99], v[140:143]// 00000000DDEC: D3F3008C 1E32C5AA
	v_mfma_f32_16x16x32_fp8_fp8 v[140:143], a[172:173], a[100:101], v[140:143]// 00000000DDF4: D3F3008C 1E32C9AC
	buffer_load_dword v75, s[20:23], 0 offen lds               // 00000000DDFC: E0511000 8005004B
	s_add_u32 m0, 0x600, s50                                   // 00000000DE04: 807C32FF 00000600
	v_mfma_f32_16x16x32_fp8_fp8 v[140:143], a[174:175], a[102:103], v[140:143]// 00000000DE0C: D3F3008C 1E32CDAE
	v_mfma_f32_16x16x32_fp8_fp8 v[104:107], a[160:161], a[104:105], v[104:107]// 00000000DE14: D3F30068 1DA2D1A0
	buffer_load_dword v76, s[20:23], 0 offen lds               // 00000000DE1C: E0511000 8005004C
	s_add_u32 m0, 0x700, s50                                   // 00000000DE24: 807C32FF 00000700
	v_mfma_f32_16x16x32_fp8_fp8 v[104:107], a[162:163], a[106:107], v[104:107]// 00000000DE2C: D3F30068 1DA2D5A2
	v_mfma_f32_16x16x32_fp8_fp8 v[104:107], a[164:165], a[108:109], v[104:107]// 00000000DE34: D3F30068 1DA2D9A4
	buffer_load_dword v77, s[20:23], 0 offen lds               // 00000000DE3C: E0511000 8005004D
	s_add_u32 m0, 0x800, s50                                   // 00000000DE44: 807C32FF 00000800
	v_mfma_f32_16x16x32_fp8_fp8 v[104:107], a[166:167], a[110:111], v[104:107]// 00000000DE4C: D3F30068 1DA2DDA6
	v_mfma_f32_16x16x32_fp8_fp8 v[144:147], a[168:169], a[104:105], v[144:147]// 00000000DE54: D3F30090 1E42D1A8
	buffer_load_dword v78, s[20:23], 0 offen lds               // 00000000DE5C: E0511000 8005004E
	s_add_u32 m0, 0x900, s50                                   // 00000000DE64: 807C32FF 00000900
	v_mfma_f32_16x16x32_fp8_fp8 v[144:147], a[170:171], a[106:107], v[144:147]// 00000000DE6C: D3F30090 1E42D5AA
	v_mfma_f32_16x16x32_fp8_fp8 v[144:147], a[172:173], a[108:109], v[144:147]// 00000000DE74: D3F30090 1E42D9AC
	buffer_load_dword v79, s[20:23], 0 offen lds               // 00000000DE7C: E0511000 8005004F
	s_add_u32 m0, 0xa00, s50                                   // 00000000DE84: 807C32FF 00000A00
	v_mfma_f32_16x16x32_fp8_fp8 v[144:147], a[174:175], a[110:111], v[144:147]// 00000000DE8C: D3F30090 1E42DDAE
	v_mfma_f32_16x16x32_fp8_fp8 v[108:111], a[160:161], a[112:113], v[108:111]// 00000000DE94: D3F3006C 1DB2E1A0
	buffer_load_dword v80, s[20:23], 0 offen lds               // 00000000DE9C: E0511000 80050050
	s_add_u32 m0, 0xb00, s50                                   // 00000000DEA4: 807C32FF 00000B00
	v_mfma_f32_16x16x32_fp8_fp8 v[108:111], a[162:163], a[114:115], v[108:111]// 00000000DEAC: D3F3006C 1DB2E5A2
	v_mfma_f32_16x16x32_fp8_fp8 v[108:111], a[164:165], a[116:117], v[108:111]// 00000000DEB4: D3F3006C 1DB2E9A4
	buffer_load_dword v81, s[20:23], 0 offen lds               // 00000000DEBC: E0511000 80050051
	s_add_u32 m0, 0xc00, s50                                   // 00000000DEC4: 807C32FF 00000C00
	v_mfma_f32_16x16x32_fp8_fp8 v[108:111], a[166:167], a[118:119], v[108:111]// 00000000DECC: D3F3006C 1DB2EDA6
	v_mfma_f32_16x16x32_fp8_fp8 v[148:151], a[168:169], a[112:113], v[148:151]// 00000000DED4: D3F30094 1E52E1A8
	buffer_load_dword v82, s[20:23], 0 offen lds               // 00000000DEDC: E0511000 80050052
	s_add_u32 m0, 0xd00, s50                                   // 00000000DEE4: 807C32FF 00000D00
	v_mfma_f32_16x16x32_fp8_fp8 v[148:151], a[170:171], a[114:115], v[148:151]// 00000000DEEC: D3F30094 1E52E5AA
	v_mfma_f32_16x16x32_fp8_fp8 v[148:151], a[172:173], a[116:117], v[148:151]// 00000000DEF4: D3F30094 1E52E9AC
	buffer_load_dword v83, s[20:23], 0 offen lds               // 00000000DEFC: E0511000 80050053
	s_add_u32 m0, 0xe00, s50                                   // 00000000DF04: 807C32FF 00000E00
	v_mfma_f32_16x16x32_fp8_fp8 v[148:151], a[174:175], a[118:119], v[148:151]// 00000000DF0C: D3F30094 1E52EDAE
	v_mfma_f32_16x16x32_fp8_fp8 v[112:115], a[160:161], a[120:121], v[112:115]// 00000000DF14: D3F30070 1DC2F1A0
	buffer_load_dword v84, s[20:23], 0 offen lds               // 00000000DF1C: E0511000 80050054
	s_add_u32 m0, 0xf00, s50                                   // 00000000DF24: 807C32FF 00000F00
	v_mfma_f32_16x16x32_fp8_fp8 v[112:115], a[162:163], a[122:123], v[112:115]// 00000000DF2C: D3F30070 1DC2F5A2
	v_mfma_f32_16x16x32_fp8_fp8 v[112:115], a[164:165], a[124:125], v[112:115]// 00000000DF34: D3F30070 1DC2F9A4
	buffer_load_dword v85, s[20:23], 0 offen lds               // 00000000DF3C: E0511000 80050055
	s_add_u32 m0, 0x1000, s50                                  // 00000000DF44: 807C32FF 00001000
	v_mfma_f32_16x16x32_fp8_fp8 v[112:115], a[166:167], a[126:127], v[112:115]// 00000000DF4C: D3F30070 1DC2FDA6
	v_mfma_f32_16x16x32_fp8_fp8 v[152:155], a[168:169], a[120:121], v[152:155]// 00000000DF54: D3F30098 1E62F1A8
	buffer_load_dword v86, s[20:23], 0 offen lds               // 00000000DF5C: E0511000 80050056
	s_add_u32 m0, 0x1100, s50                                  // 00000000DF64: 807C32FF 00001100
	v_mfma_f32_16x16x32_fp8_fp8 v[152:155], a[170:171], a[122:123], v[152:155]// 00000000DF6C: D3F30098 1E62F5AA
	v_mfma_f32_16x16x32_fp8_fp8 v[152:155], a[172:173], a[124:125], v[152:155]// 00000000DF74: D3F30098 1E62F9AC
	buffer_load_dword v87, s[20:23], 0 offen lds               // 00000000DF7C: E0511000 80050057
	s_add_u32 m0, 0x1200, s50                                  // 00000000DF84: 807C32FF 00001200
	v_mfma_f32_16x16x32_fp8_fp8 v[152:155], a[174:175], a[126:127], v[152:155]// 00000000DF8C: D3F30098 1E62FDAE
	v_mfma_f32_16x16x32_fp8_fp8 v[116:119], a[160:161], a[128:129], v[116:119]// 00000000DF94: D3F30074 1DD301A0
	buffer_load_dword v88, s[20:23], 0 offen lds               // 00000000DF9C: E0511000 80050058
	s_add_u32 m0, 0x1300, s50                                  // 00000000DFA4: 807C32FF 00001300
	v_mfma_f32_16x16x32_fp8_fp8 v[116:119], a[162:163], a[130:131], v[116:119]// 00000000DFAC: D3F30074 1DD305A2
	v_mfma_f32_16x16x32_fp8_fp8 v[116:119], a[164:165], a[132:133], v[116:119]// 00000000DFB4: D3F30074 1DD309A4
	buffer_load_dword v89, s[20:23], 0 offen lds               // 00000000DFBC: E0511000 80050059
	s_add_u32 m0, 0, s48                                       // 00000000DFC4: 807C3080
	v_mfma_f32_16x16x32_fp8_fp8 v[116:119], a[166:167], a[134:135], v[116:119]// 00000000DFC8: D3F30074 1DD30DA6
	v_mfma_f32_16x16x32_fp8_fp8 v[156:159], a[168:169], a[128:129], v[156:159]// 00000000DFD0: D3F3009C 1E7301A8
	v_mfma_f32_16x16x32_fp8_fp8 v[156:159], a[170:171], a[130:131], v[156:159]// 00000000DFD8: D3F3009C 1E7305AA
	v_mfma_f32_16x16x32_fp8_fp8 v[156:159], a[172:173], a[132:133], v[156:159]// 00000000DFE0: D3F3009C 1E7309AC
	v_mfma_f32_16x16x32_fp8_fp8 v[156:159], a[174:175], a[134:135], v[156:159]// 00000000DFE8: D3F3009C 1E730DAE
	v_mfma_f32_16x16x32_fp8_fp8 v[120:123], a[160:161], a[136:137], v[120:123]// 00000000DFF0: D3F30078 1DE311A0
	v_mfma_f32_16x16x32_fp8_fp8 v[120:123], a[162:163], a[138:139], v[120:123]// 00000000DFF8: D3F30078 1DE315A2
	v_mfma_f32_16x16x32_fp8_fp8 v[120:123], a[164:165], a[140:141], v[120:123]// 00000000E000: D3F30078 1DE319A4
	v_mfma_f32_16x16x32_fp8_fp8 v[120:123], a[166:167], a[142:143], v[120:123]// 00000000E008: D3F30078 1DE31DA6
	v_mfma_f32_16x16x32_fp8_fp8 v[160:163], a[168:169], a[136:137], v[160:163]// 00000000E010: D3F300A0 1E8311A8
	v_mfma_f32_16x16x32_fp8_fp8 v[160:163], a[170:171], a[138:139], v[160:163]// 00000000E018: D3F300A0 1E8315AA
	v_mfma_f32_16x16x32_fp8_fp8 v[160:163], a[172:173], a[140:141], v[160:163]// 00000000E020: D3F300A0 1E8319AC
	v_mfma_f32_16x16x32_fp8_fp8 v[160:163], a[174:175], a[142:143], v[160:163]// 00000000E028: D3F300A0 1E831DAE
	v_mfma_f32_16x16x32_fp8_fp8 v[124:127], a[160:161], a[144:145], v[124:127]// 00000000E030: D3F3007C 1DF321A0
	v_mfma_f32_16x16x32_fp8_fp8 v[124:127], a[162:163], a[146:147], v[124:127]// 00000000E038: D3F3007C 1DF325A2
	v_mfma_f32_16x16x32_fp8_fp8 v[124:127], a[164:165], a[148:149], v[124:127]// 00000000E040: D3F3007C 1DF329A4
	v_mfma_f32_16x16x32_fp8_fp8 v[124:127], a[166:167], a[150:151], v[124:127]// 00000000E048: D3F3007C 1DF32DA6
	v_mfma_f32_16x16x32_fp8_fp8 v[164:167], a[168:169], a[144:145], v[164:167]// 00000000E050: D3F300A4 1E9321A8
	v_mfma_f32_16x16x32_fp8_fp8 v[164:167], a[170:171], a[146:147], v[164:167]// 00000000E058: D3F300A4 1E9325AA
	v_mfma_f32_16x16x32_fp8_fp8 v[164:167], a[172:173], a[148:149], v[164:167]// 00000000E060: D3F300A4 1E9329AC
	v_mfma_f32_16x16x32_fp8_fp8 v[164:167], a[174:175], a[150:151], v[164:167]// 00000000E068: D3F300A4 1E932DAE
	v_mfma_f32_16x16x32_fp8_fp8 v[128:131], a[160:161], a[152:153], v[128:131]// 00000000E070: D3F30080 1E0331A0
	v_mfma_f32_16x16x32_fp8_fp8 v[128:131], a[162:163], a[154:155], v[128:131]// 00000000E078: D3F30080 1E0335A2
	v_mfma_f32_16x16x32_fp8_fp8 v[128:131], a[164:165], a[156:157], v[128:131]// 00000000E080: D3F30080 1E0339A4
	v_mfma_f32_16x16x32_fp8_fp8 v[128:131], a[166:167], a[158:159], v[128:131]// 00000000E088: D3F30080 1E033DA6
	v_mfma_f32_16x16x32_fp8_fp8 v[168:171], a[168:169], a[152:153], v[168:171]// 00000000E090: D3F300A8 1EA331A8
	v_mfma_f32_16x16x32_fp8_fp8 v[168:171], a[170:171], a[154:155], v[168:171]// 00000000E098: D3F300A8 1EA335AA
	v_mfma_f32_16x16x32_fp8_fp8 v[168:171], a[172:173], a[156:157], v[168:171]// 00000000E0A0: D3F300A8 1EA339AC
	v_mfma_f32_16x16x32_fp8_fp8 v[168:171], a[174:175], a[158:159], v[168:171]// 00000000E0A8: D3F300A8 1EA33DAE
	s_waitcnt vmcnt(24)                                        // 00000000E0B0: BF8C4F78
	s_barrier                                                  // 00000000E0B4: BF8A0000
	v_mfma_f32_16x16x32_fp8_fp8 v[172:175], a[176:177], a[80:81], v[172:175]// 00000000E0B8: D3F300AC 1EB2A1B0
	buffer_load_dwordx4 a[160:163], v90, s[84:87], 0 offen     // 00000000E0C0: E05C1000 8095A05A
	v_mfma_f32_16x16x32_fp8_fp8 v[172:175], a[178:179], a[82:83], v[172:175]// 00000000E0C8: D3F300AC 1EB2A5B2
	v_mfma_f32_16x16x32_fp8_fp8 v[172:175], a[180:181], a[84:85], v[172:175]// 00000000E0D0: D3F300AC 1EB2A9B4
	ds_read_b128 a[0:3], v2 offset:20608                       // 00000000E0D8: DBFE5080 00000002
	ds_read_b128 a[4:7], v2 offset:20672                       // 00000000E0E0: DBFE50C0 04000002
	v_mfma_f32_16x16x32_fp8_fp8 v[172:175], a[182:183], a[86:87], v[172:175]// 00000000E0E8: D3F300AC 1EB2ADB6
	v_mfma_f32_16x16x32_fp8_fp8 v[212:215], a[184:185], a[80:81], v[212:215]// 00000000E0F0: D3F300D4 1F52A1B8
	buffer_load_dwordx4 a[164:167], v90, s[84:87], 0 offen offset:1024// 00000000E0F8: E05C1400 8095A45A
	v_mfma_f32_16x16x32_fp8_fp8 v[212:215], a[186:187], a[82:83], v[212:215]// 00000000E100: D3F300D4 1F52A5BA
	v_mfma_f32_16x16x32_fp8_fp8 v[212:215], a[188:189], a[84:85], v[212:215]// 00000000E108: D3F300D4 1F52A9BC
	ds_read_b128 a[8:11], v2 offset:21120                      // 00000000E110: DBFE5280 08000002
	ds_read_b128 a[12:15], v2 offset:21184                     // 00000000E118: DBFE52C0 0C000002
	v_mfma_f32_16x16x32_fp8_fp8 v[212:215], a[190:191], a[86:87], v[212:215]// 00000000E120: D3F300D4 1F52ADBE
	v_mfma_f32_16x16x32_fp8_fp8 v[176:179], a[176:177], a[88:89], v[176:179]// 00000000E128: D3F300B0 1EC2B1B0
	buffer_load_dwordx4 a[168:171], v91, s[84:87], 0 offen     // 00000000E130: E05C1000 8095A85B
	v_mfma_f32_16x16x32_fp8_fp8 v[176:179], a[178:179], a[90:91], v[176:179]// 00000000E138: D3F300B0 1EC2B5B2
	v_mfma_f32_16x16x32_fp8_fp8 v[176:179], a[180:181], a[92:93], v[176:179]// 00000000E140: D3F300B0 1EC2B9B4
	ds_read_b128 a[16:19], v2 offset:21632                     // 00000000E148: DBFE5480 10000002
	ds_read_b128 a[20:23], v2 offset:21696                     // 00000000E150: DBFE54C0 14000002
	v_mfma_f32_16x16x32_fp8_fp8 v[176:179], a[182:183], a[94:95], v[176:179]// 00000000E158: D3F300B0 1EC2BDB6
	v_mfma_f32_16x16x32_fp8_fp8 v[216:219], a[184:185], a[88:89], v[216:219]// 00000000E160: D3F300D8 1F62B1B8
	buffer_load_dwordx4 a[172:175], v91, s[84:87], 0 offen offset:1024// 00000000E168: E05C1400 8095AC5B
	v_mfma_f32_16x16x32_fp8_fp8 v[216:219], a[186:187], a[90:91], v[216:219]// 00000000E170: D3F300D8 1F62B5BA
	v_mfma_f32_16x16x32_fp8_fp8 v[216:219], a[188:189], a[92:93], v[216:219]// 00000000E178: D3F300D8 1F62B9BC
	ds_read_b128 a[24:27], v2 offset:22144                     // 00000000E180: DBFE5680 18000002
	ds_read_b128 a[28:31], v2 offset:22208                     // 00000000E188: DBFE56C0 1C000002
	v_mfma_f32_16x16x32_fp8_fp8 v[216:219], a[190:191], a[94:95], v[216:219]// 00000000E190: D3F300D8 1F62BDBE
	v_mfma_f32_16x16x32_fp8_fp8 v[180:183], a[176:177], a[96:97], v[180:183]// 00000000E198: D3F300B4 1ED2C1B0
	v_mfma_f32_16x16x32_fp8_fp8 v[180:183], a[178:179], a[98:99], v[180:183]// 00000000E1A0: D3F300B4 1ED2C5B2
	v_mfma_f32_16x16x32_fp8_fp8 v[180:183], a[180:181], a[100:101], v[180:183]// 00000000E1A8: D3F300B4 1ED2C9B4
	ds_read_b128 a[32:35], v2 offset:22656                     // 00000000E1B0: DBFE5880 20000002
	ds_read_b128 a[36:39], v2 offset:22720                     // 00000000E1B8: DBFE58C0 24000002
	v_mfma_f32_16x16x32_fp8_fp8 v[180:183], a[182:183], a[102:103], v[180:183]// 00000000E1C0: D3F300B4 1ED2CDB6
	v_mfma_f32_16x16x32_fp8_fp8 v[220:223], a[184:185], a[96:97], v[220:223]// 00000000E1C8: D3F300DC 1F72C1B8
	v_mfma_f32_16x16x32_fp8_fp8 v[220:223], a[186:187], a[98:99], v[220:223]// 00000000E1D0: D3F300DC 1F72C5BA
	v_mfma_f32_16x16x32_fp8_fp8 v[220:223], a[188:189], a[100:101], v[220:223]// 00000000E1D8: D3F300DC 1F72C9BC
	ds_read_b128 a[40:43], v2 offset:23168                     // 00000000E1E0: DBFE5A80 28000002
	ds_read_b128 a[44:47], v2 offset:23232                     // 00000000E1E8: DBFE5AC0 2C000002
	v_mfma_f32_16x16x32_fp8_fp8 v[220:223], a[190:191], a[102:103], v[220:223]// 00000000E1F0: D3F300DC 1F72CDBE
	v_mfma_f32_16x16x32_fp8_fp8 v[184:187], a[176:177], a[104:105], v[184:187]// 00000000E1F8: D3F300B8 1EE2D1B0
	v_mfma_f32_16x16x32_fp8_fp8 v[184:187], a[178:179], a[106:107], v[184:187]// 00000000E200: D3F300B8 1EE2D5B2
	v_mfma_f32_16x16x32_fp8_fp8 v[184:187], a[180:181], a[108:109], v[184:187]// 00000000E208: D3F300B8 1EE2D9B4
	ds_read_b128 a[48:51], v2 offset:23680                     // 00000000E210: DBFE5C80 30000002
	ds_read_b128 a[52:55], v2 offset:23744                     // 00000000E218: DBFE5CC0 34000002
	v_mfma_f32_16x16x32_fp8_fp8 v[184:187], a[182:183], a[110:111], v[184:187]// 00000000E220: D3F300B8 1EE2DDB6
	v_mfma_f32_16x16x32_fp8_fp8 v[224:227], a[184:185], a[104:105], v[224:227]// 00000000E228: D3F300E0 1F82D1B8
	v_mfma_f32_16x16x32_fp8_fp8 v[224:227], a[186:187], a[106:107], v[224:227]// 00000000E230: D3F300E0 1F82D5BA
	v_mfma_f32_16x16x32_fp8_fp8 v[224:227], a[188:189], a[108:109], v[224:227]// 00000000E238: D3F300E0 1F82D9BC
	ds_read_b128 a[56:59], v2 offset:24192                     // 00000000E240: DBFE5E80 38000002
	ds_read_b128 a[60:63], v2 offset:24256                     // 00000000E248: DBFE5EC0 3C000002
	v_mfma_f32_16x16x32_fp8_fp8 v[224:227], a[190:191], a[110:111], v[224:227]// 00000000E250: D3F300E0 1F82DDBE
	v_mfma_f32_16x16x32_fp8_fp8 v[188:191], a[176:177], a[112:113], v[188:191]// 00000000E258: D3F300BC 1EF2E1B0
	v_mfma_f32_16x16x32_fp8_fp8 v[188:191], a[178:179], a[114:115], v[188:191]// 00000000E260: D3F300BC 1EF2E5B2
	v_mfma_f32_16x16x32_fp8_fp8 v[188:191], a[180:181], a[116:117], v[188:191]// 00000000E268: D3F300BC 1EF2E9B4
	ds_read_b128 a[64:67], v2 offset:24704                     // 00000000E270: DBFE6080 40000002
	ds_read_b128 a[68:71], v2 offset:24768                     // 00000000E278: DBFE60C0 44000002
	v_mfma_f32_16x16x32_fp8_fp8 v[188:191], a[182:183], a[118:119], v[188:191]// 00000000E280: D3F300BC 1EF2EDB6
	v_mfma_f32_16x16x32_fp8_fp8 v[228:231], a[184:185], a[112:113], v[228:231]// 00000000E288: D3F300E4 1F92E1B8
	v_mfma_f32_16x16x32_fp8_fp8 v[228:231], a[186:187], a[114:115], v[228:231]// 00000000E290: D3F300E4 1F92E5BA
	v_mfma_f32_16x16x32_fp8_fp8 v[228:231], a[188:189], a[116:117], v[228:231]// 00000000E298: D3F300E4 1F92E9BC
	ds_read_b128 a[72:75], v2 offset:25216                     // 00000000E2A0: DBFE6280 48000002
	ds_read_b128 a[76:79], v2 offset:25280                     // 00000000E2A8: DBFE62C0 4C000002
	v_mfma_f32_16x16x32_fp8_fp8 v[228:231], a[190:191], a[118:119], v[228:231]// 00000000E2B0: D3F300E4 1F92EDBE
	v_mfma_f32_16x16x32_fp8_fp8 v[192:195], a[176:177], a[120:121], v[192:195]// 00000000E2B8: D3F300C0 1F02F1B0
	v_mfma_f32_16x16x32_fp8_fp8 v[192:195], a[178:179], a[122:123], v[192:195]// 00000000E2C0: D3F300C0 1F02F5B2
	v_mfma_f32_16x16x32_fp8_fp8 v[192:195], a[180:181], a[124:125], v[192:195]// 00000000E2C8: D3F300C0 1F02F9B4
	v_mfma_f32_16x16x32_fp8_fp8 v[192:195], a[182:183], a[126:127], v[192:195]// 00000000E2D0: D3F300C0 1F02FDB6
	v_mfma_f32_16x16x32_fp8_fp8 v[232:235], a[184:185], a[120:121], v[232:235]// 00000000E2D8: D3F300E8 1FA2F1B8
	v_mfma_f32_16x16x32_fp8_fp8 v[232:235], a[186:187], a[122:123], v[232:235]// 00000000E2E0: D3F300E8 1FA2F5BA
	v_mfma_f32_16x16x32_fp8_fp8 v[232:235], a[188:189], a[124:125], v[232:235]// 00000000E2E8: D3F300E8 1FA2F9BC
	v_mfma_f32_16x16x32_fp8_fp8 v[232:235], a[190:191], a[126:127], v[232:235]// 00000000E2F0: D3F300E8 1FA2FDBE
	v_mfma_f32_16x16x32_fp8_fp8 v[196:199], a[176:177], a[128:129], v[196:199]// 00000000E2F8: D3F300C4 1F1301B0
	v_mfma_f32_16x16x32_fp8_fp8 v[196:199], a[178:179], a[130:131], v[196:199]// 00000000E300: D3F300C4 1F1305B2
	v_mfma_f32_16x16x32_fp8_fp8 v[196:199], a[180:181], a[132:133], v[196:199]// 00000000E308: D3F300C4 1F1309B4
	v_mfma_f32_16x16x32_fp8_fp8 v[196:199], a[182:183], a[134:135], v[196:199]// 00000000E310: D3F300C4 1F130DB6
	v_mfma_f32_16x16x32_fp8_fp8 v[236:239], a[184:185], a[128:129], v[236:239]// 00000000E318: D3F300EC 1FB301B8
	v_mfma_f32_16x16x32_fp8_fp8 v[236:239], a[186:187], a[130:131], v[236:239]// 00000000E320: D3F300EC 1FB305BA
	v_mfma_f32_16x16x32_fp8_fp8 v[236:239], a[188:189], a[132:133], v[236:239]// 00000000E328: D3F300EC 1FB309BC
	v_mfma_f32_16x16x32_fp8_fp8 v[236:239], a[190:191], a[134:135], v[236:239]// 00000000E330: D3F300EC 1FB30DBE
	v_mfma_f32_16x16x32_fp8_fp8 v[200:203], a[176:177], a[136:137], v[200:203]// 00000000E338: D3F300C8 1F2311B0
	v_mfma_f32_16x16x32_fp8_fp8 v[200:203], a[178:179], a[138:139], v[200:203]// 00000000E340: D3F300C8 1F2315B2
	v_mfma_f32_16x16x32_fp8_fp8 v[200:203], a[180:181], a[140:141], v[200:203]// 00000000E348: D3F300C8 1F2319B4
	v_mfma_f32_16x16x32_fp8_fp8 v[200:203], a[182:183], a[142:143], v[200:203]// 00000000E350: D3F300C8 1F231DB6
	v_mfma_f32_16x16x32_fp8_fp8 v[240:243], a[184:185], a[136:137], v[240:243]// 00000000E358: D3F300F0 1FC311B8
	v_mfma_f32_16x16x32_fp8_fp8 v[240:243], a[186:187], a[138:139], v[240:243]// 00000000E360: D3F300F0 1FC315BA
	v_mfma_f32_16x16x32_fp8_fp8 v[240:243], a[188:189], a[140:141], v[240:243]// 00000000E368: D3F300F0 1FC319BC
	v_mfma_f32_16x16x32_fp8_fp8 v[240:243], a[190:191], a[142:143], v[240:243]// 00000000E370: D3F300F0 1FC31DBE
	v_mfma_f32_16x16x32_fp8_fp8 v[204:207], a[176:177], a[144:145], v[204:207]// 00000000E378: D3F300CC 1F3321B0
	v_mfma_f32_16x16x32_fp8_fp8 v[204:207], a[178:179], a[146:147], v[204:207]// 00000000E380: D3F300CC 1F3325B2
	v_mfma_f32_16x16x32_fp8_fp8 v[204:207], a[180:181], a[148:149], v[204:207]// 00000000E388: D3F300CC 1F3329B4
	v_mfma_f32_16x16x32_fp8_fp8 v[204:207], a[182:183], a[150:151], v[204:207]// 00000000E390: D3F300CC 1F332DB6
	v_mfma_f32_16x16x32_fp8_fp8 v[244:247], a[184:185], a[144:145], v[244:247]// 00000000E398: D3F300F4 1FD321B8
	v_mfma_f32_16x16x32_fp8_fp8 v[244:247], a[186:187], a[146:147], v[244:247]// 00000000E3A0: D3F300F4 1FD325BA
	v_mfma_f32_16x16x32_fp8_fp8 v[244:247], a[188:189], a[148:149], v[244:247]// 00000000E3A8: D3F300F4 1FD329BC
	v_mfma_f32_16x16x32_fp8_fp8 v[244:247], a[190:191], a[150:151], v[244:247]// 00000000E3B0: D3F300F4 1FD32DBE
	v_mfma_f32_16x16x32_fp8_fp8 v[208:211], a[176:177], a[152:153], v[208:211]// 00000000E3B8: D3F300D0 1F4331B0
	s_add_u32 s60, 0x180, s80                                  // 00000000E3C0: 803C50FF 00000180
	s_cmp_lt_u32 s60, s81                                      // 00000000E3C8: BF0A513C
	s_cselect_b32 s57, s57, 0                                  // 00000000E3CC: 85398039
	v_mfma_f32_16x16x32_fp8_fp8 v[208:211], a[178:179], a[154:155], v[208:211]// 00000000E3D0: D3F300D0 1F4335B2
	s_add_u32 s60, 0x100, s80                                  // 00000000E3D8: 803C50FF 00000100
	s_cmp_lt_u32 s60, s81                                      // 00000000E3E0: BF0A513C
	s_cselect_b32 s58, s58, 0                                  // 00000000E3E4: 853A803A
	v_mfma_f32_16x16x32_fp8_fp8 v[208:211], a[180:181], a[156:157], v[208:211]// 00000000E3E8: D3F300D0 1F4339B4
	s_add_u32 s60, 0x100, s80                                  // 00000000E3F0: 803C50FF 00000100
	s_cmp_lt_u32 s60, s81                                      // 00000000E3F8: BF0A513C
	s_cselect_b32 s83, s83, 0                                  // 00000000E3FC: 85538053
	v_mfma_f32_16x16x32_fp8_fp8 v[208:211], a[182:183], a[158:159], v[208:211]// 00000000E400: D3F300D0 1F433DB6
	s_add_u32 s24, s58, s24                                    // 00000000E408: 8018183A
	s_addc_u32 s25, 0, s25                                     // 00000000E40C: 82191980
	v_mfma_f32_16x16x32_fp8_fp8 v[248:251], a[184:185], a[152:153], v[248:251]// 00000000E410: D3F300F8 1FE331B8
	s_add_u32 s20, s57, s20                                    // 00000000E418: 80141439
	s_addc_u32 s21, 0, s21                                     // 00000000E41C: 82151580
	v_mfma_f32_16x16x32_fp8_fp8 v[248:251], a[186:187], a[154:155], v[248:251]// 00000000E420: D3F300F8 1FE335BA
	s_add_u32 s84, s83, s84                                    // 00000000E428: 80545453
	s_addc_u32 s85, 0, s85                                     // 00000000E42C: 82555580
	v_mfma_f32_16x16x32_fp8_fp8 v[248:251], a[188:189], a[156:157], v[248:251]// 00000000E430: D3F300F8 1FE339BC
	v_mfma_f32_16x16x32_fp8_fp8 v[248:251], a[190:191], a[158:159], v[248:251]// 00000000E438: D3F300F8 1FE33DBE
	s_addk_i32 s80, 0x80                                       // 00000000E440: B7500080
	s_cmp_lt_i32 s80, s81                                      // 00000000E444: BF045150
	s_cbranch_scc0 label_3255                                  // 00000000E448: BF8403BF
	s_waitcnt vmcnt(24) lgkmcnt(0)                             // 00000000E44C: BF8C4078
	v_mfma_f32_16x16x32_fp8_fp8 v[92:95], a[192:193], a[0:1], v[92:95]// 00000000E450: D3F3005C 1D7201C0
	buffer_load_dwordx4 a[176:179], v90, s[24:27], 0 offen     // 00000000E458: E05C1000 8086B05A
	v_mfma_f32_16x16x32_fp8_fp8 v[92:95], a[194:195], a[2:3], v[92:95]// 00000000E460: D3F3005C 1D7205C2
	v_mfma_f32_16x16x32_fp8_fp8 v[92:95], a[196:197], a[4:5], v[92:95]// 00000000E468: D3F3005C 1D7209C4
	v_mfma_f32_16x16x32_fp8_fp8 v[92:95], a[198:199], a[6:7], v[92:95]// 00000000E470: D3F3005C 1D720DC6
	v_mfma_f32_16x16x32_fp8_fp8 v[132:135], a[200:201], a[0:1], v[132:135]// 00000000E478: D3F30084 1E1201C8
	buffer_load_dwordx4 a[180:183], v90, s[24:27], 0 offen offset:1024// 00000000E480: E05C1400 8086B45A
	v_mfma_f32_16x16x32_fp8_fp8 v[132:135], a[202:203], a[2:3], v[132:135]// 00000000E488: D3F30084 1E1205CA
	v_mfma_f32_16x16x32_fp8_fp8 v[132:135], a[204:205], a[4:5], v[132:135]// 00000000E490: D3F30084 1E1209CC
	v_mfma_f32_16x16x32_fp8_fp8 v[132:135], a[206:207], a[6:7], v[132:135]// 00000000E498: D3F30084 1E120DCE
	v_mfma_f32_16x16x32_fp8_fp8 v[96:99], a[192:193], a[8:9], v[96:99]// 00000000E4A0: D3F30060 1D8211C0
	buffer_load_dwordx4 a[184:187], v91, s[24:27], 0 offen     // 00000000E4A8: E05C1000 8086B85B
	v_mfma_f32_16x16x32_fp8_fp8 v[96:99], a[194:195], a[10:11], v[96:99]// 00000000E4B0: D3F30060 1D8215C2
	v_mfma_f32_16x16x32_fp8_fp8 v[96:99], a[196:197], a[12:13], v[96:99]// 00000000E4B8: D3F30060 1D8219C4
	v_mfma_f32_16x16x32_fp8_fp8 v[96:99], a[198:199], a[14:15], v[96:99]// 00000000E4C0: D3F30060 1D821DC6
	v_mfma_f32_16x16x32_fp8_fp8 v[136:139], a[200:201], a[8:9], v[136:139]// 00000000E4C8: D3F30088 1E2211C8
	buffer_load_dwordx4 a[188:191], v91, s[24:27], 0 offen offset:1024// 00000000E4D0: E05C1400 8086BC5B
	buffer_load_dword v70, s[20:23], 0 offen lds               // 00000000E4D8: E0511000 80050046
	s_add_u32 m0, 0x100, s48                                   // 00000000E4E0: 807C30FF 00000100
	v_mfma_f32_16x16x32_fp8_fp8 v[136:139], a[202:203], a[10:11], v[136:139]// 00000000E4E8: D3F30088 1E2215CA
	v_mfma_f32_16x16x32_fp8_fp8 v[136:139], a[204:205], a[12:13], v[136:139]// 00000000E4F0: D3F30088 1E2219CC
	buffer_load_dword v71, s[20:23], 0 offen lds               // 00000000E4F8: E0511000 80050047
	s_add_u32 m0, 0x200, s48                                   // 00000000E500: 807C30FF 00000200
	v_mfma_f32_16x16x32_fp8_fp8 v[136:139], a[206:207], a[14:15], v[136:139]// 00000000E508: D3F30088 1E221DCE
	v_mfma_f32_16x16x32_fp8_fp8 v[100:103], a[192:193], a[16:17], v[100:103]// 00000000E510: D3F30064 1D9221C0
	buffer_load_dword v72, s[20:23], 0 offen lds               // 00000000E518: E0511000 80050048
	s_add_u32 m0, 0x300, s48                                   // 00000000E520: 807C30FF 00000300
	v_mfma_f32_16x16x32_fp8_fp8 v[100:103], a[194:195], a[18:19], v[100:103]// 00000000E528: D3F30064 1D9225C2
	v_mfma_f32_16x16x32_fp8_fp8 v[100:103], a[196:197], a[20:21], v[100:103]// 00000000E530: D3F30064 1D9229C4
	buffer_load_dword v73, s[20:23], 0 offen lds               // 00000000E538: E0511000 80050049
	s_add_u32 m0, 0x400, s48                                   // 00000000E540: 807C30FF 00000400
	v_mfma_f32_16x16x32_fp8_fp8 v[100:103], a[198:199], a[22:23], v[100:103]// 00000000E548: D3F30064 1D922DC6
	v_mfma_f32_16x16x32_fp8_fp8 v[140:143], a[200:201], a[16:17], v[140:143]// 00000000E550: D3F3008C 1E3221C8
	buffer_load_dword v74, s[20:23], 0 offen lds               // 00000000E558: E0511000 8005004A
	s_add_u32 m0, 0x500, s48                                   // 00000000E560: 807C30FF 00000500
	v_mfma_f32_16x16x32_fp8_fp8 v[140:143], a[202:203], a[18:19], v[140:143]// 00000000E568: D3F3008C 1E3225CA
	v_mfma_f32_16x16x32_fp8_fp8 v[140:143], a[204:205], a[20:21], v[140:143]// 00000000E570: D3F3008C 1E3229CC
	buffer_load_dword v75, s[20:23], 0 offen lds               // 00000000E578: E0511000 8005004B
	s_add_u32 m0, 0x600, s48                                   // 00000000E580: 807C30FF 00000600
	v_mfma_f32_16x16x32_fp8_fp8 v[140:143], a[206:207], a[22:23], v[140:143]// 00000000E588: D3F3008C 1E322DCE
	v_mfma_f32_16x16x32_fp8_fp8 v[104:107], a[192:193], a[24:25], v[104:107]// 00000000E590: D3F30068 1DA231C0
	buffer_load_dword v76, s[20:23], 0 offen lds               // 00000000E598: E0511000 8005004C
	s_add_u32 m0, 0x700, s48                                   // 00000000E5A0: 807C30FF 00000700
	v_mfma_f32_16x16x32_fp8_fp8 v[104:107], a[194:195], a[26:27], v[104:107]// 00000000E5A8: D3F30068 1DA235C2
	v_mfma_f32_16x16x32_fp8_fp8 v[104:107], a[196:197], a[28:29], v[104:107]// 00000000E5B0: D3F30068 1DA239C4
	buffer_load_dword v77, s[20:23], 0 offen lds               // 00000000E5B8: E0511000 8005004D
	s_add_u32 m0, 0x800, s48                                   // 00000000E5C0: 807C30FF 00000800
	v_mfma_f32_16x16x32_fp8_fp8 v[104:107], a[198:199], a[30:31], v[104:107]// 00000000E5C8: D3F30068 1DA23DC6
	v_mfma_f32_16x16x32_fp8_fp8 v[144:147], a[200:201], a[24:25], v[144:147]// 00000000E5D0: D3F30090 1E4231C8
	buffer_load_dword v78, s[20:23], 0 offen lds               // 00000000E5D8: E0511000 8005004E
	s_add_u32 m0, 0x900, s48                                   // 00000000E5E0: 807C30FF 00000900
	v_mfma_f32_16x16x32_fp8_fp8 v[144:147], a[202:203], a[26:27], v[144:147]// 00000000E5E8: D3F30090 1E4235CA
	v_mfma_f32_16x16x32_fp8_fp8 v[144:147], a[204:205], a[28:29], v[144:147]// 00000000E5F0: D3F30090 1E4239CC
	buffer_load_dword v79, s[20:23], 0 offen lds               // 00000000E5F8: E0511000 8005004F
	s_add_u32 m0, 0xa00, s48                                   // 00000000E600: 807C30FF 00000A00
	v_mfma_f32_16x16x32_fp8_fp8 v[144:147], a[206:207], a[30:31], v[144:147]// 00000000E608: D3F30090 1E423DCE
	v_mfma_f32_16x16x32_fp8_fp8 v[108:111], a[192:193], a[32:33], v[108:111]// 00000000E610: D3F3006C 1DB241C0
	buffer_load_dword v80, s[20:23], 0 offen lds               // 00000000E618: E0511000 80050050
	s_add_u32 m0, 0xb00, s48                                   // 00000000E620: 807C30FF 00000B00
	v_mfma_f32_16x16x32_fp8_fp8 v[108:111], a[194:195], a[34:35], v[108:111]// 00000000E628: D3F3006C 1DB245C2
	v_mfma_f32_16x16x32_fp8_fp8 v[108:111], a[196:197], a[36:37], v[108:111]// 00000000E630: D3F3006C 1DB249C4
	buffer_load_dword v81, s[20:23], 0 offen lds               // 00000000E638: E0511000 80050051
	s_add_u32 m0, 0xc00, s48                                   // 00000000E640: 807C30FF 00000C00
	v_mfma_f32_16x16x32_fp8_fp8 v[108:111], a[198:199], a[38:39], v[108:111]// 00000000E648: D3F3006C 1DB24DC6
	v_mfma_f32_16x16x32_fp8_fp8 v[148:151], a[200:201], a[32:33], v[148:151]// 00000000E650: D3F30094 1E5241C8
	buffer_load_dword v82, s[20:23], 0 offen lds               // 00000000E658: E0511000 80050052
	s_add_u32 m0, 0xd00, s48                                   // 00000000E660: 807C30FF 00000D00
	v_mfma_f32_16x16x32_fp8_fp8 v[148:151], a[202:203], a[34:35], v[148:151]// 00000000E668: D3F30094 1E5245CA
	v_mfma_f32_16x16x32_fp8_fp8 v[148:151], a[204:205], a[36:37], v[148:151]// 00000000E670: D3F30094 1E5249CC
	buffer_load_dword v83, s[20:23], 0 offen lds               // 00000000E678: E0511000 80050053
	s_add_u32 m0, 0xe00, s48                                   // 00000000E680: 807C30FF 00000E00
	v_mfma_f32_16x16x32_fp8_fp8 v[148:151], a[206:207], a[38:39], v[148:151]// 00000000E688: D3F30094 1E524DCE
	v_mfma_f32_16x16x32_fp8_fp8 v[112:115], a[192:193], a[40:41], v[112:115]// 00000000E690: D3F30070 1DC251C0
	buffer_load_dword v84, s[20:23], 0 offen lds               // 00000000E698: E0511000 80050054
	s_add_u32 m0, 0xf00, s48                                   // 00000000E6A0: 807C30FF 00000F00
	v_mfma_f32_16x16x32_fp8_fp8 v[112:115], a[194:195], a[42:43], v[112:115]// 00000000E6A8: D3F30070 1DC255C2
	v_mfma_f32_16x16x32_fp8_fp8 v[112:115], a[196:197], a[44:45], v[112:115]// 00000000E6B0: D3F30070 1DC259C4
	buffer_load_dword v85, s[20:23], 0 offen lds               // 00000000E6B8: E0511000 80050055
	s_add_u32 m0, 0x1000, s48                                  // 00000000E6C0: 807C30FF 00001000
	v_mfma_f32_16x16x32_fp8_fp8 v[112:115], a[198:199], a[46:47], v[112:115]// 00000000E6C8: D3F30070 1DC25DC6
	v_mfma_f32_16x16x32_fp8_fp8 v[152:155], a[200:201], a[40:41], v[152:155]// 00000000E6D0: D3F30098 1E6251C8
	buffer_load_dword v86, s[20:23], 0 offen lds               // 00000000E6D8: E0511000 80050056
	s_add_u32 m0, 0x1100, s48                                  // 00000000E6E0: 807C30FF 00001100
	v_mfma_f32_16x16x32_fp8_fp8 v[152:155], a[202:203], a[42:43], v[152:155]// 00000000E6E8: D3F30098 1E6255CA
	v_mfma_f32_16x16x32_fp8_fp8 v[152:155], a[204:205], a[44:45], v[152:155]// 00000000E6F0: D3F30098 1E6259CC
	buffer_load_dword v87, s[20:23], 0 offen lds               // 00000000E6F8: E0511000 80050057
	s_add_u32 m0, 0x1200, s48                                  // 00000000E700: 807C30FF 00001200
	v_mfma_f32_16x16x32_fp8_fp8 v[152:155], a[206:207], a[46:47], v[152:155]// 00000000E708: D3F30098 1E625DCE
	v_mfma_f32_16x16x32_fp8_fp8 v[116:119], a[192:193], a[48:49], v[116:119]// 00000000E710: D3F30074 1DD261C0
	buffer_load_dword v88, s[20:23], 0 offen lds               // 00000000E718: E0511000 80050058
	s_add_u32 m0, 0x1300, s48                                  // 00000000E720: 807C30FF 00001300
	v_mfma_f32_16x16x32_fp8_fp8 v[116:119], a[194:195], a[50:51], v[116:119]// 00000000E728: D3F30074 1DD265C2
	v_mfma_f32_16x16x32_fp8_fp8 v[116:119], a[196:197], a[52:53], v[116:119]// 00000000E730: D3F30074 1DD269C4
	buffer_load_dword v89, s[20:23], 0 offen lds               // 00000000E738: E0511000 80050059
	s_add_u32 m0, 0, s49                                       // 00000000E740: 807C3180
	v_mfma_f32_16x16x32_fp8_fp8 v[116:119], a[198:199], a[54:55], v[116:119]// 00000000E744: D3F30074 1DD26DC6
	v_mfma_f32_16x16x32_fp8_fp8 v[156:159], a[200:201], a[48:49], v[156:159]// 00000000E74C: D3F3009C 1E7261C8
	v_mfma_f32_16x16x32_fp8_fp8 v[156:159], a[202:203], a[50:51], v[156:159]// 00000000E754: D3F3009C 1E7265CA
	v_mfma_f32_16x16x32_fp8_fp8 v[156:159], a[204:205], a[52:53], v[156:159]// 00000000E75C: D3F3009C 1E7269CC
	v_mfma_f32_16x16x32_fp8_fp8 v[156:159], a[206:207], a[54:55], v[156:159]// 00000000E764: D3F3009C 1E726DCE
	v_mfma_f32_16x16x32_fp8_fp8 v[120:123], a[192:193], a[56:57], v[120:123]// 00000000E76C: D3F30078 1DE271C0
	v_mfma_f32_16x16x32_fp8_fp8 v[120:123], a[194:195], a[58:59], v[120:123]// 00000000E774: D3F30078 1DE275C2
	v_mfma_f32_16x16x32_fp8_fp8 v[120:123], a[196:197], a[60:61], v[120:123]// 00000000E77C: D3F30078 1DE279C4
	v_mfma_f32_16x16x32_fp8_fp8 v[120:123], a[198:199], a[62:63], v[120:123]// 00000000E784: D3F30078 1DE27DC6
	v_mfma_f32_16x16x32_fp8_fp8 v[160:163], a[200:201], a[56:57], v[160:163]// 00000000E78C: D3F300A0 1E8271C8
	v_mfma_f32_16x16x32_fp8_fp8 v[160:163], a[202:203], a[58:59], v[160:163]// 00000000E794: D3F300A0 1E8275CA
	v_mfma_f32_16x16x32_fp8_fp8 v[160:163], a[204:205], a[60:61], v[160:163]// 00000000E79C: D3F300A0 1E8279CC
	v_mfma_f32_16x16x32_fp8_fp8 v[160:163], a[206:207], a[62:63], v[160:163]// 00000000E7A4: D3F300A0 1E827DCE
	v_mfma_f32_16x16x32_fp8_fp8 v[124:127], a[192:193], a[64:65], v[124:127]// 00000000E7AC: D3F3007C 1DF281C0
	v_mfma_f32_16x16x32_fp8_fp8 v[124:127], a[194:195], a[66:67], v[124:127]// 00000000E7B4: D3F3007C 1DF285C2
	v_mfma_f32_16x16x32_fp8_fp8 v[124:127], a[196:197], a[68:69], v[124:127]// 00000000E7BC: D3F3007C 1DF289C4
	v_mfma_f32_16x16x32_fp8_fp8 v[124:127], a[198:199], a[70:71], v[124:127]// 00000000E7C4: D3F3007C 1DF28DC6
	v_mfma_f32_16x16x32_fp8_fp8 v[164:167], a[200:201], a[64:65], v[164:167]// 00000000E7CC: D3F300A4 1E9281C8
	v_mfma_f32_16x16x32_fp8_fp8 v[164:167], a[202:203], a[66:67], v[164:167]// 00000000E7D4: D3F300A4 1E9285CA
	v_mfma_f32_16x16x32_fp8_fp8 v[164:167], a[204:205], a[68:69], v[164:167]// 00000000E7DC: D3F300A4 1E9289CC
	v_mfma_f32_16x16x32_fp8_fp8 v[164:167], a[206:207], a[70:71], v[164:167]// 00000000E7E4: D3F300A4 1E928DCE
	v_mfma_f32_16x16x32_fp8_fp8 v[128:131], a[192:193], a[72:73], v[128:131]// 00000000E7EC: D3F30080 1E0291C0
	v_mfma_f32_16x16x32_fp8_fp8 v[128:131], a[194:195], a[74:75], v[128:131]// 00000000E7F4: D3F30080 1E0295C2
	v_mfma_f32_16x16x32_fp8_fp8 v[128:131], a[196:197], a[76:77], v[128:131]// 00000000E7FC: D3F30080 1E0299C4
	v_mfma_f32_16x16x32_fp8_fp8 v[128:131], a[198:199], a[78:79], v[128:131]// 00000000E804: D3F30080 1E029DC6
	v_mfma_f32_16x16x32_fp8_fp8 v[168:171], a[200:201], a[72:73], v[168:171]// 00000000E80C: D3F300A8 1EA291C8
	v_mfma_f32_16x16x32_fp8_fp8 v[168:171], a[202:203], a[74:75], v[168:171]// 00000000E814: D3F300A8 1EA295CA
	v_mfma_f32_16x16x32_fp8_fp8 v[168:171], a[204:205], a[76:77], v[168:171]// 00000000E81C: D3F300A8 1EA299CC
	v_mfma_f32_16x16x32_fp8_fp8 v[168:171], a[206:207], a[78:79], v[168:171]// 00000000E824: D3F300A8 1EA29DCE
	s_waitcnt vmcnt(24)                                        // 00000000E82C: BF8C4F78
	s_barrier                                                  // 00000000E830: BF8A0000
	v_mfma_f32_16x16x32_fp8_fp8 v[172:175], a[160:161], a[0:1], v[172:175]// 00000000E834: D3F300AC 1EB201A0
	buffer_load_dwordx4 a[192:195], v90, s[84:87], 0 offen     // 00000000E83C: E05C1000 8095C05A
	v_mfma_f32_16x16x32_fp8_fp8 v[172:175], a[162:163], a[2:3], v[172:175]// 00000000E844: D3F300AC 1EB205A2
	v_mfma_f32_16x16x32_fp8_fp8 v[172:175], a[164:165], a[4:5], v[172:175]// 00000000E84C: D3F300AC 1EB209A4
	ds_read_b128 a[80:83], v2 offset:41216                     // 00000000E854: DBFEA100 50000002
	ds_read_b128 a[84:87], v2 offset:41280                     // 00000000E85C: DBFEA140 54000002
	v_mfma_f32_16x16x32_fp8_fp8 v[172:175], a[166:167], a[6:7], v[172:175]// 00000000E864: D3F300AC 1EB20DA6
	v_mfma_f32_16x16x32_fp8_fp8 v[212:215], a[168:169], a[0:1], v[212:215]// 00000000E86C: D3F300D4 1F5201A8
	buffer_load_dwordx4 a[196:199], v90, s[84:87], 0 offen offset:1024// 00000000E874: E05C1400 8095C45A
	v_mfma_f32_16x16x32_fp8_fp8 v[212:215], a[170:171], a[2:3], v[212:215]// 00000000E87C: D3F300D4 1F5205AA
	v_mfma_f32_16x16x32_fp8_fp8 v[212:215], a[172:173], a[4:5], v[212:215]// 00000000E884: D3F300D4 1F5209AC
	ds_read_b128 a[88:91], v2 offset:41728                     // 00000000E88C: DBFEA300 58000002
	ds_read_b128 a[92:95], v2 offset:41792                     // 00000000E894: DBFEA340 5C000002
	v_mfma_f32_16x16x32_fp8_fp8 v[212:215], a[174:175], a[6:7], v[212:215]// 00000000E89C: D3F300D4 1F520DAE
	v_mfma_f32_16x16x32_fp8_fp8 v[176:179], a[160:161], a[8:9], v[176:179]// 00000000E8A4: D3F300B0 1EC211A0
	buffer_load_dwordx4 a[200:203], v91, s[84:87], 0 offen     // 00000000E8AC: E05C1000 8095C85B
	v_mfma_f32_16x16x32_fp8_fp8 v[176:179], a[162:163], a[10:11], v[176:179]// 00000000E8B4: D3F300B0 1EC215A2
	v_mfma_f32_16x16x32_fp8_fp8 v[176:179], a[164:165], a[12:13], v[176:179]// 00000000E8BC: D3F300B0 1EC219A4
	ds_read_b128 a[96:99], v2 offset:42240                     // 00000000E8C4: DBFEA500 60000002
	ds_read_b128 a[100:103], v2 offset:42304                   // 00000000E8CC: DBFEA540 64000002
	v_mfma_f32_16x16x32_fp8_fp8 v[176:179], a[166:167], a[14:15], v[176:179]// 00000000E8D4: D3F300B0 1EC21DA6
	v_mfma_f32_16x16x32_fp8_fp8 v[216:219], a[168:169], a[8:9], v[216:219]// 00000000E8DC: D3F300D8 1F6211A8
	buffer_load_dwordx4 a[204:207], v91, s[84:87], 0 offen offset:1024// 00000000E8E4: E05C1400 8095CC5B
	v_mfma_f32_16x16x32_fp8_fp8 v[216:219], a[170:171], a[10:11], v[216:219]// 00000000E8EC: D3F300D8 1F6215AA
	v_mfma_f32_16x16x32_fp8_fp8 v[216:219], a[172:173], a[12:13], v[216:219]// 00000000E8F4: D3F300D8 1F6219AC
	ds_read_b128 a[104:107], v2 offset:42752                   // 00000000E8FC: DBFEA700 68000002
	ds_read_b128 a[108:111], v2 offset:42816                   // 00000000E904: DBFEA740 6C000002
	v_mfma_f32_16x16x32_fp8_fp8 v[216:219], a[174:175], a[14:15], v[216:219]// 00000000E90C: D3F300D8 1F621DAE
	v_mfma_f32_16x16x32_fp8_fp8 v[180:183], a[160:161], a[16:17], v[180:183]// 00000000E914: D3F300B4 1ED221A0
	v_mfma_f32_16x16x32_fp8_fp8 v[180:183], a[162:163], a[18:19], v[180:183]// 00000000E91C: D3F300B4 1ED225A2
	v_mfma_f32_16x16x32_fp8_fp8 v[180:183], a[164:165], a[20:21], v[180:183]// 00000000E924: D3F300B4 1ED229A4
	ds_read_b128 a[112:115], v2 offset:43264                   // 00000000E92C: DBFEA900 70000002
	ds_read_b128 a[116:119], v2 offset:43328                   // 00000000E934: DBFEA940 74000002
	v_mfma_f32_16x16x32_fp8_fp8 v[180:183], a[166:167], a[22:23], v[180:183]// 00000000E93C: D3F300B4 1ED22DA6
	v_mfma_f32_16x16x32_fp8_fp8 v[220:223], a[168:169], a[16:17], v[220:223]// 00000000E944: D3F300DC 1F7221A8
	v_mfma_f32_16x16x32_fp8_fp8 v[220:223], a[170:171], a[18:19], v[220:223]// 00000000E94C: D3F300DC 1F7225AA
	v_mfma_f32_16x16x32_fp8_fp8 v[220:223], a[172:173], a[20:21], v[220:223]// 00000000E954: D3F300DC 1F7229AC
	ds_read_b128 a[120:123], v2 offset:43776                   // 00000000E95C: DBFEAB00 78000002
	ds_read_b128 a[124:127], v2 offset:43840                   // 00000000E964: DBFEAB40 7C000002
	v_mfma_f32_16x16x32_fp8_fp8 v[220:223], a[174:175], a[22:23], v[220:223]// 00000000E96C: D3F300DC 1F722DAE
	v_mfma_f32_16x16x32_fp8_fp8 v[184:187], a[160:161], a[24:25], v[184:187]// 00000000E974: D3F300B8 1EE231A0
	v_mfma_f32_16x16x32_fp8_fp8 v[184:187], a[162:163], a[26:27], v[184:187]// 00000000E97C: D3F300B8 1EE235A2
	v_mfma_f32_16x16x32_fp8_fp8 v[184:187], a[164:165], a[28:29], v[184:187]// 00000000E984: D3F300B8 1EE239A4
	ds_read_b128 a[128:131], v2 offset:44288                   // 00000000E98C: DBFEAD00 80000002
	ds_read_b128 a[132:135], v2 offset:44352                   // 00000000E994: DBFEAD40 84000002
	v_mfma_f32_16x16x32_fp8_fp8 v[184:187], a[166:167], a[30:31], v[184:187]// 00000000E99C: D3F300B8 1EE23DA6
	v_mfma_f32_16x16x32_fp8_fp8 v[224:227], a[168:169], a[24:25], v[224:227]// 00000000E9A4: D3F300E0 1F8231A8
	v_mfma_f32_16x16x32_fp8_fp8 v[224:227], a[170:171], a[26:27], v[224:227]// 00000000E9AC: D3F300E0 1F8235AA
	v_mfma_f32_16x16x32_fp8_fp8 v[224:227], a[172:173], a[28:29], v[224:227]// 00000000E9B4: D3F300E0 1F8239AC
	ds_read_b128 a[136:139], v2 offset:44800                   // 00000000E9BC: DBFEAF00 88000002
	ds_read_b128 a[140:143], v2 offset:44864                   // 00000000E9C4: DBFEAF40 8C000002
	v_mfma_f32_16x16x32_fp8_fp8 v[224:227], a[174:175], a[30:31], v[224:227]// 00000000E9CC: D3F300E0 1F823DAE
	v_mfma_f32_16x16x32_fp8_fp8 v[188:191], a[160:161], a[32:33], v[188:191]// 00000000E9D4: D3F300BC 1EF241A0
	v_mfma_f32_16x16x32_fp8_fp8 v[188:191], a[162:163], a[34:35], v[188:191]// 00000000E9DC: D3F300BC 1EF245A2
	v_mfma_f32_16x16x32_fp8_fp8 v[188:191], a[164:165], a[36:37], v[188:191]// 00000000E9E4: D3F300BC 1EF249A4
	ds_read_b128 a[144:147], v2 offset:45312                   // 00000000E9EC: DBFEB100 90000002
	ds_read_b128 a[148:151], v2 offset:45376                   // 00000000E9F4: DBFEB140 94000002
	v_mfma_f32_16x16x32_fp8_fp8 v[188:191], a[166:167], a[38:39], v[188:191]// 00000000E9FC: D3F300BC 1EF24DA6
	v_mfma_f32_16x16x32_fp8_fp8 v[228:231], a[168:169], a[32:33], v[228:231]// 00000000EA04: D3F300E4 1F9241A8
	v_mfma_f32_16x16x32_fp8_fp8 v[228:231], a[170:171], a[34:35], v[228:231]// 00000000EA0C: D3F300E4 1F9245AA
	v_mfma_f32_16x16x32_fp8_fp8 v[228:231], a[172:173], a[36:37], v[228:231]// 00000000EA14: D3F300E4 1F9249AC
	ds_read_b128 a[152:155], v2 offset:45824                   // 00000000EA1C: DBFEB300 98000002
	ds_read_b128 a[156:159], v2 offset:45888                   // 00000000EA24: DBFEB340 9C000002
	v_mfma_f32_16x16x32_fp8_fp8 v[228:231], a[174:175], a[38:39], v[228:231]// 00000000EA2C: D3F300E4 1F924DAE
	v_mfma_f32_16x16x32_fp8_fp8 v[192:195], a[160:161], a[40:41], v[192:195]// 00000000EA34: D3F300C0 1F0251A0
	v_mfma_f32_16x16x32_fp8_fp8 v[192:195], a[162:163], a[42:43], v[192:195]// 00000000EA3C: D3F300C0 1F0255A2
	v_mfma_f32_16x16x32_fp8_fp8 v[192:195], a[164:165], a[44:45], v[192:195]// 00000000EA44: D3F300C0 1F0259A4
	v_mfma_f32_16x16x32_fp8_fp8 v[192:195], a[166:167], a[46:47], v[192:195]// 00000000EA4C: D3F300C0 1F025DA6
	v_mfma_f32_16x16x32_fp8_fp8 v[232:235], a[168:169], a[40:41], v[232:235]// 00000000EA54: D3F300E8 1FA251A8
	v_mfma_f32_16x16x32_fp8_fp8 v[232:235], a[170:171], a[42:43], v[232:235]// 00000000EA5C: D3F300E8 1FA255AA
	v_mfma_f32_16x16x32_fp8_fp8 v[232:235], a[172:173], a[44:45], v[232:235]// 00000000EA64: D3F300E8 1FA259AC
	v_mfma_f32_16x16x32_fp8_fp8 v[232:235], a[174:175], a[46:47], v[232:235]// 00000000EA6C: D3F300E8 1FA25DAE
	v_mfma_f32_16x16x32_fp8_fp8 v[196:199], a[160:161], a[48:49], v[196:199]// 00000000EA74: D3F300C4 1F1261A0
	v_mfma_f32_16x16x32_fp8_fp8 v[196:199], a[162:163], a[50:51], v[196:199]// 00000000EA7C: D3F300C4 1F1265A2
	v_mfma_f32_16x16x32_fp8_fp8 v[196:199], a[164:165], a[52:53], v[196:199]// 00000000EA84: D3F300C4 1F1269A4
	v_mfma_f32_16x16x32_fp8_fp8 v[196:199], a[166:167], a[54:55], v[196:199]// 00000000EA8C: D3F300C4 1F126DA6
	v_mfma_f32_16x16x32_fp8_fp8 v[236:239], a[168:169], a[48:49], v[236:239]// 00000000EA94: D3F300EC 1FB261A8
	v_mfma_f32_16x16x32_fp8_fp8 v[236:239], a[170:171], a[50:51], v[236:239]// 00000000EA9C: D3F300EC 1FB265AA
	v_mfma_f32_16x16x32_fp8_fp8 v[236:239], a[172:173], a[52:53], v[236:239]// 00000000EAA4: D3F300EC 1FB269AC
	v_mfma_f32_16x16x32_fp8_fp8 v[236:239], a[174:175], a[54:55], v[236:239]// 00000000EAAC: D3F300EC 1FB26DAE
	v_mfma_f32_16x16x32_fp8_fp8 v[200:203], a[160:161], a[56:57], v[200:203]// 00000000EAB4: D3F300C8 1F2271A0
	v_mfma_f32_16x16x32_fp8_fp8 v[200:203], a[162:163], a[58:59], v[200:203]// 00000000EABC: D3F300C8 1F2275A2
	v_mfma_f32_16x16x32_fp8_fp8 v[200:203], a[164:165], a[60:61], v[200:203]// 00000000EAC4: D3F300C8 1F2279A4
	v_mfma_f32_16x16x32_fp8_fp8 v[200:203], a[166:167], a[62:63], v[200:203]// 00000000EACC: D3F300C8 1F227DA6
	v_mfma_f32_16x16x32_fp8_fp8 v[240:243], a[168:169], a[56:57], v[240:243]// 00000000EAD4: D3F300F0 1FC271A8
	v_mfma_f32_16x16x32_fp8_fp8 v[240:243], a[170:171], a[58:59], v[240:243]// 00000000EADC: D3F300F0 1FC275AA
	v_mfma_f32_16x16x32_fp8_fp8 v[240:243], a[172:173], a[60:61], v[240:243]// 00000000EAE4: D3F300F0 1FC279AC
	v_mfma_f32_16x16x32_fp8_fp8 v[240:243], a[174:175], a[62:63], v[240:243]// 00000000EAEC: D3F300F0 1FC27DAE
	v_mfma_f32_16x16x32_fp8_fp8 v[204:207], a[160:161], a[64:65], v[204:207]// 00000000EAF4: D3F300CC 1F3281A0
	v_mfma_f32_16x16x32_fp8_fp8 v[204:207], a[162:163], a[66:67], v[204:207]// 00000000EAFC: D3F300CC 1F3285A2
	v_mfma_f32_16x16x32_fp8_fp8 v[204:207], a[164:165], a[68:69], v[204:207]// 00000000EB04: D3F300CC 1F3289A4
	v_mfma_f32_16x16x32_fp8_fp8 v[204:207], a[166:167], a[70:71], v[204:207]// 00000000EB0C: D3F300CC 1F328DA6
	v_mfma_f32_16x16x32_fp8_fp8 v[244:247], a[168:169], a[64:65], v[244:247]// 00000000EB14: D3F300F4 1FD281A8
	v_mfma_f32_16x16x32_fp8_fp8 v[244:247], a[170:171], a[66:67], v[244:247]// 00000000EB1C: D3F300F4 1FD285AA
	v_mfma_f32_16x16x32_fp8_fp8 v[244:247], a[172:173], a[68:69], v[244:247]// 00000000EB24: D3F300F4 1FD289AC
	v_mfma_f32_16x16x32_fp8_fp8 v[244:247], a[174:175], a[70:71], v[244:247]// 00000000EB2C: D3F300F4 1FD28DAE
	v_mfma_f32_16x16x32_fp8_fp8 v[208:211], a[160:161], a[72:73], v[208:211]// 00000000EB34: D3F300D0 1F4291A0
	s_add_u32 s60, 0x180, s80                                  // 00000000EB3C: 803C50FF 00000180
	s_cmp_lt_u32 s60, s81                                      // 00000000EB44: BF0A513C
	s_cselect_b32 s57, s57, 0                                  // 00000000EB48: 85398039
	v_mfma_f32_16x16x32_fp8_fp8 v[208:211], a[162:163], a[74:75], v[208:211]// 00000000EB4C: D3F300D0 1F4295A2
	s_add_u32 s60, 0x100, s80                                  // 00000000EB54: 803C50FF 00000100
	s_cmp_lt_u32 s60, s81                                      // 00000000EB5C: BF0A513C
	s_cselect_b32 s58, s58, 0                                  // 00000000EB60: 853A803A
	v_mfma_f32_16x16x32_fp8_fp8 v[208:211], a[164:165], a[76:77], v[208:211]// 00000000EB64: D3F300D0 1F4299A4
	s_add_u32 s60, 0x100, s80                                  // 00000000EB6C: 803C50FF 00000100
	s_cmp_lt_u32 s60, s81                                      // 00000000EB74: BF0A513C
	s_cselect_b32 s83, s83, 0                                  // 00000000EB78: 85538053
	v_mfma_f32_16x16x32_fp8_fp8 v[208:211], a[166:167], a[78:79], v[208:211]// 00000000EB7C: D3F300D0 1F429DA6
	s_add_u32 s24, s58, s24                                    // 00000000EB84: 8018183A
	s_addc_u32 s25, 0, s25                                     // 00000000EB88: 82191980
	v_mfma_f32_16x16x32_fp8_fp8 v[248:251], a[168:169], a[72:73], v[248:251]// 00000000EB8C: D3F300F8 1FE291A8
	s_add_u32 s20, s57, s20                                    // 00000000EB94: 80141439
	s_addc_u32 s21, 0, s21                                     // 00000000EB98: 82151580
	v_mfma_f32_16x16x32_fp8_fp8 v[248:251], a[170:171], a[74:75], v[248:251]// 00000000EB9C: D3F300F8 1FE295AA
	s_add_u32 s84, s83, s84                                    // 00000000EBA4: 80545453
	s_addc_u32 s85, 0, s85                                     // 00000000EBA8: 82555580
	v_mfma_f32_16x16x32_fp8_fp8 v[248:251], a[172:173], a[76:77], v[248:251]// 00000000EBAC: D3F300F8 1FE299AC
	v_mfma_f32_16x16x32_fp8_fp8 v[248:251], a[174:175], a[78:79], v[248:251]// 00000000EBB4: D3F300F8 1FE29DAE
	s_addk_i32 s80, 0x80                                       // 00000000EBBC: B7500080
	s_cmp_lt_i32 s80, s81                                      // 00000000EBC0: BF045150
	s_cbranch_scc0 label_3255                                  // 00000000EBC4: BF8401E0
	s_waitcnt vmcnt(24) lgkmcnt(0)                             // 00000000EBC8: BF8C4078
	v_mfma_f32_16x16x32_fp8_fp8 v[92:95], a[176:177], a[80:81], v[92:95]// 00000000EBCC: D3F3005C 1D72A1B0
	buffer_load_dwordx4 a[160:163], v90, s[24:27], 0 offen     // 00000000EBD4: E05C1000 8086A05A
	v_mfma_f32_16x16x32_fp8_fp8 v[92:95], a[178:179], a[82:83], v[92:95]// 00000000EBDC: D3F3005C 1D72A5B2
	v_mfma_f32_16x16x32_fp8_fp8 v[92:95], a[180:181], a[84:85], v[92:95]// 00000000EBE4: D3F3005C 1D72A9B4
	v_mfma_f32_16x16x32_fp8_fp8 v[92:95], a[182:183], a[86:87], v[92:95]// 00000000EBEC: D3F3005C 1D72ADB6
	v_mfma_f32_16x16x32_fp8_fp8 v[132:135], a[184:185], a[80:81], v[132:135]// 00000000EBF4: D3F30084 1E12A1B8
	buffer_load_dwordx4 a[164:167], v90, s[24:27], 0 offen offset:1024// 00000000EBFC: E05C1400 8086A45A
	v_mfma_f32_16x16x32_fp8_fp8 v[132:135], a[186:187], a[82:83], v[132:135]// 00000000EC04: D3F30084 1E12A5BA
	v_mfma_f32_16x16x32_fp8_fp8 v[132:135], a[188:189], a[84:85], v[132:135]// 00000000EC0C: D3F30084 1E12A9BC
	v_mfma_f32_16x16x32_fp8_fp8 v[132:135], a[190:191], a[86:87], v[132:135]// 00000000EC14: D3F30084 1E12ADBE
	v_mfma_f32_16x16x32_fp8_fp8 v[96:99], a[176:177], a[88:89], v[96:99]// 00000000EC1C: D3F30060 1D82B1B0
	buffer_load_dwordx4 a[168:171], v91, s[24:27], 0 offen     // 00000000EC24: E05C1000 8086A85B
	v_mfma_f32_16x16x32_fp8_fp8 v[96:99], a[178:179], a[90:91], v[96:99]// 00000000EC2C: D3F30060 1D82B5B2
	v_mfma_f32_16x16x32_fp8_fp8 v[96:99], a[180:181], a[92:93], v[96:99]// 00000000EC34: D3F30060 1D82B9B4
	v_mfma_f32_16x16x32_fp8_fp8 v[96:99], a[182:183], a[94:95], v[96:99]// 00000000EC3C: D3F30060 1D82BDB6
	v_mfma_f32_16x16x32_fp8_fp8 v[136:139], a[184:185], a[88:89], v[136:139]// 00000000EC44: D3F30088 1E22B1B8
	buffer_load_dwordx4 a[172:175], v91, s[24:27], 0 offen offset:1024// 00000000EC4C: E05C1400 8086AC5B
	buffer_load_dword v70, s[20:23], 0 offen lds               // 00000000EC54: E0511000 80050046
	s_add_u32 m0, 0x100, s49                                   // 00000000EC5C: 807C31FF 00000100
	v_mfma_f32_16x16x32_fp8_fp8 v[136:139], a[186:187], a[90:91], v[136:139]// 00000000EC64: D3F30088 1E22B5BA
	v_mfma_f32_16x16x32_fp8_fp8 v[136:139], a[188:189], a[92:93], v[136:139]// 00000000EC6C: D3F30088 1E22B9BC
	buffer_load_dword v71, s[20:23], 0 offen lds               // 00000000EC74: E0511000 80050047
	s_add_u32 m0, 0x200, s49                                   // 00000000EC7C: 807C31FF 00000200
	v_mfma_f32_16x16x32_fp8_fp8 v[136:139], a[190:191], a[94:95], v[136:139]// 00000000EC84: D3F30088 1E22BDBE
	v_mfma_f32_16x16x32_fp8_fp8 v[100:103], a[176:177], a[96:97], v[100:103]// 00000000EC8C: D3F30064 1D92C1B0
	buffer_load_dword v72, s[20:23], 0 offen lds               // 00000000EC94: E0511000 80050048
	s_add_u32 m0, 0x300, s49                                   // 00000000EC9C: 807C31FF 00000300
	v_mfma_f32_16x16x32_fp8_fp8 v[100:103], a[178:179], a[98:99], v[100:103]// 00000000ECA4: D3F30064 1D92C5B2
	v_mfma_f32_16x16x32_fp8_fp8 v[100:103], a[180:181], a[100:101], v[100:103]// 00000000ECAC: D3F30064 1D92C9B4
	buffer_load_dword v73, s[20:23], 0 offen lds               // 00000000ECB4: E0511000 80050049
	s_add_u32 m0, 0x400, s49                                   // 00000000ECBC: 807C31FF 00000400
	v_mfma_f32_16x16x32_fp8_fp8 v[100:103], a[182:183], a[102:103], v[100:103]// 00000000ECC4: D3F30064 1D92CDB6
	v_mfma_f32_16x16x32_fp8_fp8 v[140:143], a[184:185], a[96:97], v[140:143]// 00000000ECCC: D3F3008C 1E32C1B8
	buffer_load_dword v74, s[20:23], 0 offen lds               // 00000000ECD4: E0511000 8005004A
	s_add_u32 m0, 0x500, s49                                   // 00000000ECDC: 807C31FF 00000500
	v_mfma_f32_16x16x32_fp8_fp8 v[140:143], a[186:187], a[98:99], v[140:143]// 00000000ECE4: D3F3008C 1E32C5BA
	v_mfma_f32_16x16x32_fp8_fp8 v[140:143], a[188:189], a[100:101], v[140:143]// 00000000ECEC: D3F3008C 1E32C9BC
	buffer_load_dword v75, s[20:23], 0 offen lds               // 00000000ECF4: E0511000 8005004B
	s_add_u32 m0, 0x600, s49                                   // 00000000ECFC: 807C31FF 00000600
	v_mfma_f32_16x16x32_fp8_fp8 v[140:143], a[190:191], a[102:103], v[140:143]// 00000000ED04: D3F3008C 1E32CDBE
	v_mfma_f32_16x16x32_fp8_fp8 v[104:107], a[176:177], a[104:105], v[104:107]// 00000000ED0C: D3F30068 1DA2D1B0
	buffer_load_dword v76, s[20:23], 0 offen lds               // 00000000ED14: E0511000 8005004C
	s_add_u32 m0, 0x700, s49                                   // 00000000ED1C: 807C31FF 00000700
	v_mfma_f32_16x16x32_fp8_fp8 v[104:107], a[178:179], a[106:107], v[104:107]// 00000000ED24: D3F30068 1DA2D5B2
	v_mfma_f32_16x16x32_fp8_fp8 v[104:107], a[180:181], a[108:109], v[104:107]// 00000000ED2C: D3F30068 1DA2D9B4
	buffer_load_dword v77, s[20:23], 0 offen lds               // 00000000ED34: E0511000 8005004D
	s_add_u32 m0, 0x800, s49                                   // 00000000ED3C: 807C31FF 00000800
	v_mfma_f32_16x16x32_fp8_fp8 v[104:107], a[182:183], a[110:111], v[104:107]// 00000000ED44: D3F30068 1DA2DDB6
	v_mfma_f32_16x16x32_fp8_fp8 v[144:147], a[184:185], a[104:105], v[144:147]// 00000000ED4C: D3F30090 1E42D1B8
	buffer_load_dword v78, s[20:23], 0 offen lds               // 00000000ED54: E0511000 8005004E
	s_add_u32 m0, 0x900, s49                                   // 00000000ED5C: 807C31FF 00000900
	v_mfma_f32_16x16x32_fp8_fp8 v[144:147], a[186:187], a[106:107], v[144:147]// 00000000ED64: D3F30090 1E42D5BA
	v_mfma_f32_16x16x32_fp8_fp8 v[144:147], a[188:189], a[108:109], v[144:147]// 00000000ED6C: D3F30090 1E42D9BC
	buffer_load_dword v79, s[20:23], 0 offen lds               // 00000000ED74: E0511000 8005004F
	s_add_u32 m0, 0xa00, s49                                   // 00000000ED7C: 807C31FF 00000A00
	v_mfma_f32_16x16x32_fp8_fp8 v[144:147], a[190:191], a[110:111], v[144:147]// 00000000ED84: D3F30090 1E42DDBE
	v_mfma_f32_16x16x32_fp8_fp8 v[108:111], a[176:177], a[112:113], v[108:111]// 00000000ED8C: D3F3006C 1DB2E1B0
	buffer_load_dword v80, s[20:23], 0 offen lds               // 00000000ED94: E0511000 80050050
	s_add_u32 m0, 0xb00, s49                                   // 00000000ED9C: 807C31FF 00000B00
	v_mfma_f32_16x16x32_fp8_fp8 v[108:111], a[178:179], a[114:115], v[108:111]// 00000000EDA4: D3F3006C 1DB2E5B2
	v_mfma_f32_16x16x32_fp8_fp8 v[108:111], a[180:181], a[116:117], v[108:111]// 00000000EDAC: D3F3006C 1DB2E9B4
	buffer_load_dword v81, s[20:23], 0 offen lds               // 00000000EDB4: E0511000 80050051
	s_add_u32 m0, 0xc00, s49                                   // 00000000EDBC: 807C31FF 00000C00
	v_mfma_f32_16x16x32_fp8_fp8 v[108:111], a[182:183], a[118:119], v[108:111]// 00000000EDC4: D3F3006C 1DB2EDB6
	v_mfma_f32_16x16x32_fp8_fp8 v[148:151], a[184:185], a[112:113], v[148:151]// 00000000EDCC: D3F30094 1E52E1B8
	buffer_load_dword v82, s[20:23], 0 offen lds               // 00000000EDD4: E0511000 80050052
	s_add_u32 m0, 0xd00, s49                                   // 00000000EDDC: 807C31FF 00000D00
	v_mfma_f32_16x16x32_fp8_fp8 v[148:151], a[186:187], a[114:115], v[148:151]// 00000000EDE4: D3F30094 1E52E5BA
	v_mfma_f32_16x16x32_fp8_fp8 v[148:151], a[188:189], a[116:117], v[148:151]// 00000000EDEC: D3F30094 1E52E9BC
	buffer_load_dword v83, s[20:23], 0 offen lds               // 00000000EDF4: E0511000 80050053
	s_add_u32 m0, 0xe00, s49                                   // 00000000EDFC: 807C31FF 00000E00
	v_mfma_f32_16x16x32_fp8_fp8 v[148:151], a[190:191], a[118:119], v[148:151]// 00000000EE04: D3F30094 1E52EDBE
	v_mfma_f32_16x16x32_fp8_fp8 v[112:115], a[176:177], a[120:121], v[112:115]// 00000000EE0C: D3F30070 1DC2F1B0
	buffer_load_dword v84, s[20:23], 0 offen lds               // 00000000EE14: E0511000 80050054
	s_add_u32 m0, 0xf00, s49                                   // 00000000EE1C: 807C31FF 00000F00
	v_mfma_f32_16x16x32_fp8_fp8 v[112:115], a[178:179], a[122:123], v[112:115]// 00000000EE24: D3F30070 1DC2F5B2
	v_mfma_f32_16x16x32_fp8_fp8 v[112:115], a[180:181], a[124:125], v[112:115]// 00000000EE2C: D3F30070 1DC2F9B4
	buffer_load_dword v85, s[20:23], 0 offen lds               // 00000000EE34: E0511000 80050055
	s_add_u32 m0, 0x1000, s49                                  // 00000000EE3C: 807C31FF 00001000
	v_mfma_f32_16x16x32_fp8_fp8 v[112:115], a[182:183], a[126:127], v[112:115]// 00000000EE44: D3F30070 1DC2FDB6
	v_mfma_f32_16x16x32_fp8_fp8 v[152:155], a[184:185], a[120:121], v[152:155]// 00000000EE4C: D3F30098 1E62F1B8
	buffer_load_dword v86, s[20:23], 0 offen lds               // 00000000EE54: E0511000 80050056
	s_add_u32 m0, 0x1100, s49                                  // 00000000EE5C: 807C31FF 00001100
	v_mfma_f32_16x16x32_fp8_fp8 v[152:155], a[186:187], a[122:123], v[152:155]// 00000000EE64: D3F30098 1E62F5BA
	v_mfma_f32_16x16x32_fp8_fp8 v[152:155], a[188:189], a[124:125], v[152:155]// 00000000EE6C: D3F30098 1E62F9BC
	buffer_load_dword v87, s[20:23], 0 offen lds               // 00000000EE74: E0511000 80050057
	s_add_u32 m0, 0x1200, s49                                  // 00000000EE7C: 807C31FF 00001200
	v_mfma_f32_16x16x32_fp8_fp8 v[152:155], a[190:191], a[126:127], v[152:155]// 00000000EE84: D3F30098 1E62FDBE
	v_mfma_f32_16x16x32_fp8_fp8 v[116:119], a[176:177], a[128:129], v[116:119]// 00000000EE8C: D3F30074 1DD301B0
	buffer_load_dword v88, s[20:23], 0 offen lds               // 00000000EE94: E0511000 80050058
	s_add_u32 m0, 0x1300, s49                                  // 00000000EE9C: 807C31FF 00001300
	v_mfma_f32_16x16x32_fp8_fp8 v[116:119], a[178:179], a[130:131], v[116:119]// 00000000EEA4: D3F30074 1DD305B2
	v_mfma_f32_16x16x32_fp8_fp8 v[116:119], a[180:181], a[132:133], v[116:119]// 00000000EEAC: D3F30074 1DD309B4
	buffer_load_dword v89, s[20:23], 0 offen lds               // 00000000EEB4: E0511000 80050059
	s_add_u32 m0, 0, s50                                       // 00000000EEBC: 807C3280
	v_mfma_f32_16x16x32_fp8_fp8 v[116:119], a[182:183], a[134:135], v[116:119]// 00000000EEC0: D3F30074 1DD30DB6
	v_mfma_f32_16x16x32_fp8_fp8 v[156:159], a[184:185], a[128:129], v[156:159]// 00000000EEC8: D3F3009C 1E7301B8
	v_mfma_f32_16x16x32_fp8_fp8 v[156:159], a[186:187], a[130:131], v[156:159]// 00000000EED0: D3F3009C 1E7305BA
	v_mfma_f32_16x16x32_fp8_fp8 v[156:159], a[188:189], a[132:133], v[156:159]// 00000000EED8: D3F3009C 1E7309BC
	v_mfma_f32_16x16x32_fp8_fp8 v[156:159], a[190:191], a[134:135], v[156:159]// 00000000EEE0: D3F3009C 1E730DBE
	v_mfma_f32_16x16x32_fp8_fp8 v[120:123], a[176:177], a[136:137], v[120:123]// 00000000EEE8: D3F30078 1DE311B0
	v_mfma_f32_16x16x32_fp8_fp8 v[120:123], a[178:179], a[138:139], v[120:123]// 00000000EEF0: D3F30078 1DE315B2
	v_mfma_f32_16x16x32_fp8_fp8 v[120:123], a[180:181], a[140:141], v[120:123]// 00000000EEF8: D3F30078 1DE319B4
	v_mfma_f32_16x16x32_fp8_fp8 v[120:123], a[182:183], a[142:143], v[120:123]// 00000000EF00: D3F30078 1DE31DB6
	v_mfma_f32_16x16x32_fp8_fp8 v[160:163], a[184:185], a[136:137], v[160:163]// 00000000EF08: D3F300A0 1E8311B8
	v_mfma_f32_16x16x32_fp8_fp8 v[160:163], a[186:187], a[138:139], v[160:163]// 00000000EF10: D3F300A0 1E8315BA
	v_mfma_f32_16x16x32_fp8_fp8 v[160:163], a[188:189], a[140:141], v[160:163]// 00000000EF18: D3F300A0 1E8319BC
	v_mfma_f32_16x16x32_fp8_fp8 v[160:163], a[190:191], a[142:143], v[160:163]// 00000000EF20: D3F300A0 1E831DBE
	v_mfma_f32_16x16x32_fp8_fp8 v[124:127], a[176:177], a[144:145], v[124:127]// 00000000EF28: D3F3007C 1DF321B0
	v_mfma_f32_16x16x32_fp8_fp8 v[124:127], a[178:179], a[146:147], v[124:127]// 00000000EF30: D3F3007C 1DF325B2
	v_mfma_f32_16x16x32_fp8_fp8 v[124:127], a[180:181], a[148:149], v[124:127]// 00000000EF38: D3F3007C 1DF329B4
	v_mfma_f32_16x16x32_fp8_fp8 v[124:127], a[182:183], a[150:151], v[124:127]// 00000000EF40: D3F3007C 1DF32DB6
	v_mfma_f32_16x16x32_fp8_fp8 v[164:167], a[184:185], a[144:145], v[164:167]// 00000000EF48: D3F300A4 1E9321B8
	v_mfma_f32_16x16x32_fp8_fp8 v[164:167], a[186:187], a[146:147], v[164:167]// 00000000EF50: D3F300A4 1E9325BA
	v_mfma_f32_16x16x32_fp8_fp8 v[164:167], a[188:189], a[148:149], v[164:167]// 00000000EF58: D3F300A4 1E9329BC
	v_mfma_f32_16x16x32_fp8_fp8 v[164:167], a[190:191], a[150:151], v[164:167]// 00000000EF60: D3F300A4 1E932DBE
	v_mfma_f32_16x16x32_fp8_fp8 v[128:131], a[176:177], a[152:153], v[128:131]// 00000000EF68: D3F30080 1E0331B0
	v_mfma_f32_16x16x32_fp8_fp8 v[128:131], a[178:179], a[154:155], v[128:131]// 00000000EF70: D3F30080 1E0335B2
	v_mfma_f32_16x16x32_fp8_fp8 v[128:131], a[180:181], a[156:157], v[128:131]// 00000000EF78: D3F30080 1E0339B4
	v_mfma_f32_16x16x32_fp8_fp8 v[128:131], a[182:183], a[158:159], v[128:131]// 00000000EF80: D3F30080 1E033DB6
	v_mfma_f32_16x16x32_fp8_fp8 v[168:171], a[184:185], a[152:153], v[168:171]// 00000000EF88: D3F300A8 1EA331B8
	v_mfma_f32_16x16x32_fp8_fp8 v[168:171], a[186:187], a[154:155], v[168:171]// 00000000EF90: D3F300A8 1EA335BA
	v_mfma_f32_16x16x32_fp8_fp8 v[168:171], a[188:189], a[156:157], v[168:171]// 00000000EF98: D3F300A8 1EA339BC
	v_mfma_f32_16x16x32_fp8_fp8 v[168:171], a[190:191], a[158:159], v[168:171]// 00000000EFA0: D3F300A8 1EA33DBE
	s_waitcnt vmcnt(24)                                        // 00000000EFA8: BF8C4F78
	s_barrier                                                  // 00000000EFAC: BF8A0000
	v_mfma_f32_16x16x32_fp8_fp8 v[172:175], a[192:193], a[80:81], v[172:175]// 00000000EFB0: D3F300AC 1EB2A1C0
	buffer_load_dwordx4 a[176:179], v90, s[84:87], 0 offen     // 00000000EFB8: E05C1000 8095B05A
	v_mfma_f32_16x16x32_fp8_fp8 v[172:175], a[194:195], a[82:83], v[172:175]// 00000000EFC0: D3F300AC 1EB2A5C2
	v_mfma_f32_16x16x32_fp8_fp8 v[172:175], a[196:197], a[84:85], v[172:175]// 00000000EFC8: D3F300AC 1EB2A9C4
	ds_read_b128 a[0:3], v2                                    // 00000000EFD0: DBFE0000 00000002
	ds_read_b128 a[4:7], v2 offset:64                          // 00000000EFD8: DBFE0040 04000002
	v_mfma_f32_16x16x32_fp8_fp8 v[172:175], a[198:199], a[86:87], v[172:175]// 00000000EFE0: D3F300AC 1EB2ADC6
	v_mfma_f32_16x16x32_fp8_fp8 v[212:215], a[200:201], a[80:81], v[212:215]// 00000000EFE8: D3F300D4 1F52A1C8
	buffer_load_dwordx4 a[180:183], v90, s[84:87], 0 offen offset:1024// 00000000EFF0: E05C1400 8095B45A
	v_mfma_f32_16x16x32_fp8_fp8 v[212:215], a[202:203], a[82:83], v[212:215]// 00000000EFF8: D3F300D4 1F52A5CA
	v_mfma_f32_16x16x32_fp8_fp8 v[212:215], a[204:205], a[84:85], v[212:215]// 00000000F000: D3F300D4 1F52A9CC
	ds_read_b128 a[8:11], v2 offset:512                        // 00000000F008: DBFE0200 08000002
	ds_read_b128 a[12:15], v2 offset:576                       // 00000000F010: DBFE0240 0C000002
	v_mfma_f32_16x16x32_fp8_fp8 v[212:215], a[206:207], a[86:87], v[212:215]// 00000000F018: D3F300D4 1F52ADCE
	v_mfma_f32_16x16x32_fp8_fp8 v[176:179], a[192:193], a[88:89], v[176:179]// 00000000F020: D3F300B0 1EC2B1C0
	buffer_load_dwordx4 a[184:187], v91, s[84:87], 0 offen     // 00000000F028: E05C1000 8095B85B
	v_mfma_f32_16x16x32_fp8_fp8 v[176:179], a[194:195], a[90:91], v[176:179]// 00000000F030: D3F300B0 1EC2B5C2
	v_mfma_f32_16x16x32_fp8_fp8 v[176:179], a[196:197], a[92:93], v[176:179]// 00000000F038: D3F300B0 1EC2B9C4
	ds_read_b128 a[16:19], v2 offset:1024                      // 00000000F040: DBFE0400 10000002
	ds_read_b128 a[20:23], v2 offset:1088                      // 00000000F048: DBFE0440 14000002
	v_mfma_f32_16x16x32_fp8_fp8 v[176:179], a[198:199], a[94:95], v[176:179]// 00000000F050: D3F300B0 1EC2BDC6
	v_mfma_f32_16x16x32_fp8_fp8 v[216:219], a[200:201], a[88:89], v[216:219]// 00000000F058: D3F300D8 1F62B1C8
	buffer_load_dwordx4 a[188:191], v91, s[84:87], 0 offen offset:1024// 00000000F060: E05C1400 8095BC5B
	v_mfma_f32_16x16x32_fp8_fp8 v[216:219], a[202:203], a[90:91], v[216:219]// 00000000F068: D3F300D8 1F62B5CA
	v_mfma_f32_16x16x32_fp8_fp8 v[216:219], a[204:205], a[92:93], v[216:219]// 00000000F070: D3F300D8 1F62B9CC
	ds_read_b128 a[24:27], v2 offset:1536                      // 00000000F078: DBFE0600 18000002
	ds_read_b128 a[28:31], v2 offset:1600                      // 00000000F080: DBFE0640 1C000002
	v_mfma_f32_16x16x32_fp8_fp8 v[216:219], a[206:207], a[94:95], v[216:219]// 00000000F088: D3F300D8 1F62BDCE
	v_mfma_f32_16x16x32_fp8_fp8 v[180:183], a[192:193], a[96:97], v[180:183]// 00000000F090: D3F300B4 1ED2C1C0
	v_mfma_f32_16x16x32_fp8_fp8 v[180:183], a[194:195], a[98:99], v[180:183]// 00000000F098: D3F300B4 1ED2C5C2
	v_mfma_f32_16x16x32_fp8_fp8 v[180:183], a[196:197], a[100:101], v[180:183]// 00000000F0A0: D3F300B4 1ED2C9C4
	ds_read_b128 a[32:35], v2 offset:2048                      // 00000000F0A8: DBFE0800 20000002
	ds_read_b128 a[36:39], v2 offset:2112                      // 00000000F0B0: DBFE0840 24000002
	v_mfma_f32_16x16x32_fp8_fp8 v[180:183], a[198:199], a[102:103], v[180:183]// 00000000F0B8: D3F300B4 1ED2CDC6
	v_mfma_f32_16x16x32_fp8_fp8 v[220:223], a[200:201], a[96:97], v[220:223]// 00000000F0C0: D3F300DC 1F72C1C8
	v_mfma_f32_16x16x32_fp8_fp8 v[220:223], a[202:203], a[98:99], v[220:223]// 00000000F0C8: D3F300DC 1F72C5CA
	v_mfma_f32_16x16x32_fp8_fp8 v[220:223], a[204:205], a[100:101], v[220:223]// 00000000F0D0: D3F300DC 1F72C9CC
	ds_read_b128 a[40:43], v2 offset:2560                      // 00000000F0D8: DBFE0A00 28000002
	ds_read_b128 a[44:47], v2 offset:2624                      // 00000000F0E0: DBFE0A40 2C000002
	v_mfma_f32_16x16x32_fp8_fp8 v[220:223], a[206:207], a[102:103], v[220:223]// 00000000F0E8: D3F300DC 1F72CDCE
	v_mfma_f32_16x16x32_fp8_fp8 v[184:187], a[192:193], a[104:105], v[184:187]// 00000000F0F0: D3F300B8 1EE2D1C0
	v_mfma_f32_16x16x32_fp8_fp8 v[184:187], a[194:195], a[106:107], v[184:187]// 00000000F0F8: D3F300B8 1EE2D5C2
	v_mfma_f32_16x16x32_fp8_fp8 v[184:187], a[196:197], a[108:109], v[184:187]// 00000000F100: D3F300B8 1EE2D9C4
	ds_read_b128 a[48:51], v2 offset:3072                      // 00000000F108: DBFE0C00 30000002
	ds_read_b128 a[52:55], v2 offset:3136                      // 00000000F110: DBFE0C40 34000002
	v_mfma_f32_16x16x32_fp8_fp8 v[184:187], a[198:199], a[110:111], v[184:187]// 00000000F118: D3F300B8 1EE2DDC6
	v_mfma_f32_16x16x32_fp8_fp8 v[224:227], a[200:201], a[104:105], v[224:227]// 00000000F120: D3F300E0 1F82D1C8
	v_mfma_f32_16x16x32_fp8_fp8 v[224:227], a[202:203], a[106:107], v[224:227]// 00000000F128: D3F300E0 1F82D5CA
	v_mfma_f32_16x16x32_fp8_fp8 v[224:227], a[204:205], a[108:109], v[224:227]// 00000000F130: D3F300E0 1F82D9CC
	ds_read_b128 a[56:59], v2 offset:3584                      // 00000000F138: DBFE0E00 38000002
	ds_read_b128 a[60:63], v2 offset:3648                      // 00000000F140: DBFE0E40 3C000002
	v_mfma_f32_16x16x32_fp8_fp8 v[224:227], a[206:207], a[110:111], v[224:227]// 00000000F148: D3F300E0 1F82DDCE
	v_mfma_f32_16x16x32_fp8_fp8 v[188:191], a[192:193], a[112:113], v[188:191]// 00000000F150: D3F300BC 1EF2E1C0
	v_mfma_f32_16x16x32_fp8_fp8 v[188:191], a[194:195], a[114:115], v[188:191]// 00000000F158: D3F300BC 1EF2E5C2
	v_mfma_f32_16x16x32_fp8_fp8 v[188:191], a[196:197], a[116:117], v[188:191]// 00000000F160: D3F300BC 1EF2E9C4
	ds_read_b128 a[64:67], v2 offset:4096                      // 00000000F168: DBFE1000 40000002
	ds_read_b128 a[68:71], v2 offset:4160                      // 00000000F170: DBFE1040 44000002
	v_mfma_f32_16x16x32_fp8_fp8 v[188:191], a[198:199], a[118:119], v[188:191]// 00000000F178: D3F300BC 1EF2EDC6
	v_mfma_f32_16x16x32_fp8_fp8 v[228:231], a[200:201], a[112:113], v[228:231]// 00000000F180: D3F300E4 1F92E1C8
	v_mfma_f32_16x16x32_fp8_fp8 v[228:231], a[202:203], a[114:115], v[228:231]// 00000000F188: D3F300E4 1F92E5CA
	v_mfma_f32_16x16x32_fp8_fp8 v[228:231], a[204:205], a[116:117], v[228:231]// 00000000F190: D3F300E4 1F92E9CC
	ds_read_b128 a[72:75], v2 offset:4608                      // 00000000F198: DBFE1200 48000002
	ds_read_b128 a[76:79], v2 offset:4672                      // 00000000F1A0: DBFE1240 4C000002
	v_mfma_f32_16x16x32_fp8_fp8 v[228:231], a[206:207], a[118:119], v[228:231]// 00000000F1A8: D3F300E4 1F92EDCE
	v_mfma_f32_16x16x32_fp8_fp8 v[192:195], a[192:193], a[120:121], v[192:195]// 00000000F1B0: D3F300C0 1F02F1C0
	v_mfma_f32_16x16x32_fp8_fp8 v[192:195], a[194:195], a[122:123], v[192:195]// 00000000F1B8: D3F300C0 1F02F5C2
	v_mfma_f32_16x16x32_fp8_fp8 v[192:195], a[196:197], a[124:125], v[192:195]// 00000000F1C0: D3F300C0 1F02F9C4
	v_mfma_f32_16x16x32_fp8_fp8 v[192:195], a[198:199], a[126:127], v[192:195]// 00000000F1C8: D3F300C0 1F02FDC6
	v_mfma_f32_16x16x32_fp8_fp8 v[232:235], a[200:201], a[120:121], v[232:235]// 00000000F1D0: D3F300E8 1FA2F1C8
	v_mfma_f32_16x16x32_fp8_fp8 v[232:235], a[202:203], a[122:123], v[232:235]// 00000000F1D8: D3F300E8 1FA2F5CA
	v_mfma_f32_16x16x32_fp8_fp8 v[232:235], a[204:205], a[124:125], v[232:235]// 00000000F1E0: D3F300E8 1FA2F9CC
	v_mfma_f32_16x16x32_fp8_fp8 v[232:235], a[206:207], a[126:127], v[232:235]// 00000000F1E8: D3F300E8 1FA2FDCE
	v_mfma_f32_16x16x32_fp8_fp8 v[196:199], a[192:193], a[128:129], v[196:199]// 00000000F1F0: D3F300C4 1F1301C0
	v_mfma_f32_16x16x32_fp8_fp8 v[196:199], a[194:195], a[130:131], v[196:199]// 00000000F1F8: D3F300C4 1F1305C2
	v_mfma_f32_16x16x32_fp8_fp8 v[196:199], a[196:197], a[132:133], v[196:199]// 00000000F200: D3F300C4 1F1309C4
	v_mfma_f32_16x16x32_fp8_fp8 v[196:199], a[198:199], a[134:135], v[196:199]// 00000000F208: D3F300C4 1F130DC6
	v_mfma_f32_16x16x32_fp8_fp8 v[236:239], a[200:201], a[128:129], v[236:239]// 00000000F210: D3F300EC 1FB301C8
	v_mfma_f32_16x16x32_fp8_fp8 v[236:239], a[202:203], a[130:131], v[236:239]// 00000000F218: D3F300EC 1FB305CA
	v_mfma_f32_16x16x32_fp8_fp8 v[236:239], a[204:205], a[132:133], v[236:239]// 00000000F220: D3F300EC 1FB309CC
	v_mfma_f32_16x16x32_fp8_fp8 v[236:239], a[206:207], a[134:135], v[236:239]// 00000000F228: D3F300EC 1FB30DCE
	v_mfma_f32_16x16x32_fp8_fp8 v[200:203], a[192:193], a[136:137], v[200:203]// 00000000F230: D3F300C8 1F2311C0
	v_mfma_f32_16x16x32_fp8_fp8 v[200:203], a[194:195], a[138:139], v[200:203]// 00000000F238: D3F300C8 1F2315C2
	v_mfma_f32_16x16x32_fp8_fp8 v[200:203], a[196:197], a[140:141], v[200:203]// 00000000F240: D3F300C8 1F2319C4
	v_mfma_f32_16x16x32_fp8_fp8 v[200:203], a[198:199], a[142:143], v[200:203]// 00000000F248: D3F300C8 1F231DC6
	v_mfma_f32_16x16x32_fp8_fp8 v[240:243], a[200:201], a[136:137], v[240:243]// 00000000F250: D3F300F0 1FC311C8
	v_mfma_f32_16x16x32_fp8_fp8 v[240:243], a[202:203], a[138:139], v[240:243]// 00000000F258: D3F300F0 1FC315CA
	v_mfma_f32_16x16x32_fp8_fp8 v[240:243], a[204:205], a[140:141], v[240:243]// 00000000F260: D3F300F0 1FC319CC
	v_mfma_f32_16x16x32_fp8_fp8 v[240:243], a[206:207], a[142:143], v[240:243]// 00000000F268: D3F300F0 1FC31DCE
	v_mfma_f32_16x16x32_fp8_fp8 v[204:207], a[192:193], a[144:145], v[204:207]// 00000000F270: D3F300CC 1F3321C0
	v_mfma_f32_16x16x32_fp8_fp8 v[204:207], a[194:195], a[146:147], v[204:207]// 00000000F278: D3F300CC 1F3325C2
	v_mfma_f32_16x16x32_fp8_fp8 v[204:207], a[196:197], a[148:149], v[204:207]// 00000000F280: D3F300CC 1F3329C4
	v_mfma_f32_16x16x32_fp8_fp8 v[204:207], a[198:199], a[150:151], v[204:207]// 00000000F288: D3F300CC 1F332DC6
	v_mfma_f32_16x16x32_fp8_fp8 v[244:247], a[200:201], a[144:145], v[244:247]// 00000000F290: D3F300F4 1FD321C8
	v_mfma_f32_16x16x32_fp8_fp8 v[244:247], a[202:203], a[146:147], v[244:247]// 00000000F298: D3F300F4 1FD325CA
	v_mfma_f32_16x16x32_fp8_fp8 v[244:247], a[204:205], a[148:149], v[244:247]// 00000000F2A0: D3F300F4 1FD329CC
	v_mfma_f32_16x16x32_fp8_fp8 v[244:247], a[206:207], a[150:151], v[244:247]// 00000000F2A8: D3F300F4 1FD32DCE
	v_mfma_f32_16x16x32_fp8_fp8 v[208:211], a[192:193], a[152:153], v[208:211]// 00000000F2B0: D3F300D0 1F4331C0
	s_add_u32 s60, 0x180, s80                                  // 00000000F2B8: 803C50FF 00000180
	s_cmp_lt_u32 s60, s81                                      // 00000000F2C0: BF0A513C
	s_cselect_b32 s57, s57, 0                                  // 00000000F2C4: 85398039
	v_mfma_f32_16x16x32_fp8_fp8 v[208:211], a[194:195], a[154:155], v[208:211]// 00000000F2C8: D3F300D0 1F4335C2
	s_add_u32 s60, 0x100, s80                                  // 00000000F2D0: 803C50FF 00000100
	s_cmp_lt_u32 s60, s81                                      // 00000000F2D8: BF0A513C
	s_cselect_b32 s58, s58, 0                                  // 00000000F2DC: 853A803A
	v_mfma_f32_16x16x32_fp8_fp8 v[208:211], a[196:197], a[156:157], v[208:211]// 00000000F2E0: D3F300D0 1F4339C4
	s_add_u32 s60, 0x100, s80                                  // 00000000F2E8: 803C50FF 00000100
	s_cmp_lt_u32 s60, s81                                      // 00000000F2F0: BF0A513C
	s_cselect_b32 s83, s83, 0                                  // 00000000F2F4: 85538053
	v_mfma_f32_16x16x32_fp8_fp8 v[208:211], a[198:199], a[158:159], v[208:211]// 00000000F2F8: D3F300D0 1F433DC6
	s_add_u32 s24, s58, s24                                    // 00000000F300: 8018183A
	s_addc_u32 s25, 0, s25                                     // 00000000F304: 82191980
	v_mfma_f32_16x16x32_fp8_fp8 v[248:251], a[200:201], a[152:153], v[248:251]// 00000000F308: D3F300F8 1FE331C8
	s_add_u32 s20, s57, s20                                    // 00000000F310: 80141439
	s_addc_u32 s21, 0, s21                                     // 00000000F314: 82151580
	v_mfma_f32_16x16x32_fp8_fp8 v[248:251], a[202:203], a[154:155], v[248:251]// 00000000F318: D3F300F8 1FE335CA
	s_add_u32 s84, s83, s84                                    // 00000000F320: 80545453
	s_addc_u32 s85, 0, s85                                     // 00000000F324: 82555580
	v_mfma_f32_16x16x32_fp8_fp8 v[248:251], a[204:205], a[156:157], v[248:251]// 00000000F328: D3F300F8 1FE339CC
	v_mfma_f32_16x16x32_fp8_fp8 v[248:251], a[206:207], a[158:159], v[248:251]// 00000000F330: D3F300F8 1FE33DCE
	s_addk_i32 s80, 0x80                                       // 00000000F338: B7500080
	s_cmp_lt_i32 s80, s81                                      // 00000000F33C: BF045150
	s_cbranch_scc0 label_3255                                  // 00000000F340: BF840001
	s_branch label_271A                                        // 00000000F344: BF82F4C5

000000000000f348 <label_3255>:
	v_mul_f32_dpp v92, v24, v92 row_newbcast:0 row_mask:0xf bank_mask:0xf// 00000000F348: 0AB8B8FA FF015018
	v_mul_f32_dpp v93, v24, v93 row_newbcast:1 row_mask:0xf bank_mask:0xf// 00000000F350: 0ABABAFA FF015118
	v_mul_f32_dpp v94, v24, v94 row_newbcast:2 row_mask:0xf bank_mask:0xf// 00000000F358: 0ABCBCFA FF015218
	v_mul_f32_dpp v95, v24, v95 row_newbcast:3 row_mask:0xf bank_mask:0xf// 00000000F360: 0ABEBEFA FF015318
	v_mul_f32_dpp v96, v24, v96 row_newbcast:0 row_mask:0xf bank_mask:0xf// 00000000F368: 0AC0C0FA FF015018
	v_mul_f32_dpp v97, v24, v97 row_newbcast:1 row_mask:0xf bank_mask:0xf// 00000000F370: 0AC2C2FA FF015118
	v_mul_f32_dpp v98, v24, v98 row_newbcast:2 row_mask:0xf bank_mask:0xf// 00000000F378: 0AC4C4FA FF015218
	v_mul_f32_dpp v99, v24, v99 row_newbcast:3 row_mask:0xf bank_mask:0xf// 00000000F380: 0AC6C6FA FF015318
	v_mul_f32_dpp v100, v24, v100 row_newbcast:0 row_mask:0xf bank_mask:0xf// 00000000F388: 0AC8C8FA FF015018
	v_mul_f32_dpp v101, v24, v101 row_newbcast:1 row_mask:0xf bank_mask:0xf// 00000000F390: 0ACACAFA FF015118
	v_mul_f32_dpp v102, v24, v102 row_newbcast:2 row_mask:0xf bank_mask:0xf// 00000000F398: 0ACCCCFA FF015218
	v_mul_f32_dpp v103, v24, v103 row_newbcast:3 row_mask:0xf bank_mask:0xf// 00000000F3A0: 0ACECEFA FF015318
	v_mul_f32_dpp v104, v24, v104 row_newbcast:0 row_mask:0xf bank_mask:0xf// 00000000F3A8: 0AD0D0FA FF015018
	v_mul_f32_dpp v105, v24, v105 row_newbcast:1 row_mask:0xf bank_mask:0xf// 00000000F3B0: 0AD2D2FA FF015118
	v_mul_f32_dpp v106, v24, v106 row_newbcast:2 row_mask:0xf bank_mask:0xf// 00000000F3B8: 0AD4D4FA FF015218
	v_mul_f32_dpp v107, v24, v107 row_newbcast:3 row_mask:0xf bank_mask:0xf// 00000000F3C0: 0AD6D6FA FF015318
	v_mul_f32_dpp v108, v24, v108 row_newbcast:0 row_mask:0xf bank_mask:0xf// 00000000F3C8: 0AD8D8FA FF015018
	v_mul_f32_dpp v109, v24, v109 row_newbcast:1 row_mask:0xf bank_mask:0xf// 00000000F3D0: 0ADADAFA FF015118
	v_mul_f32_dpp v110, v24, v110 row_newbcast:2 row_mask:0xf bank_mask:0xf// 00000000F3D8: 0ADCDCFA FF015218
	v_mul_f32_dpp v111, v24, v111 row_newbcast:3 row_mask:0xf bank_mask:0xf// 00000000F3E0: 0ADEDEFA FF015318
	v_mul_f32_dpp v112, v24, v112 row_newbcast:0 row_mask:0xf bank_mask:0xf// 00000000F3E8: 0AE0E0FA FF015018
	v_mul_f32_dpp v113, v24, v113 row_newbcast:1 row_mask:0xf bank_mask:0xf// 00000000F3F0: 0AE2E2FA FF015118
	v_mul_f32_dpp v114, v24, v114 row_newbcast:2 row_mask:0xf bank_mask:0xf// 00000000F3F8: 0AE4E4FA FF015218
	v_mul_f32_dpp v115, v24, v115 row_newbcast:3 row_mask:0xf bank_mask:0xf// 00000000F400: 0AE6E6FA FF015318
	v_mul_f32_dpp v116, v24, v116 row_newbcast:0 row_mask:0xf bank_mask:0xf// 00000000F408: 0AE8E8FA FF015018
	v_mul_f32_dpp v117, v24, v117 row_newbcast:1 row_mask:0xf bank_mask:0xf// 00000000F410: 0AEAEAFA FF015118
	v_mul_f32_dpp v118, v24, v118 row_newbcast:2 row_mask:0xf bank_mask:0xf// 00000000F418: 0AECECFA FF015218
	v_mul_f32_dpp v119, v24, v119 row_newbcast:3 row_mask:0xf bank_mask:0xf// 00000000F420: 0AEEEEFA FF015318
	v_mul_f32_dpp v120, v24, v120 row_newbcast:0 row_mask:0xf bank_mask:0xf// 00000000F428: 0AF0F0FA FF015018
	v_mul_f32_dpp v121, v24, v121 row_newbcast:1 row_mask:0xf bank_mask:0xf// 00000000F430: 0AF2F2FA FF015118
	v_mul_f32_dpp v122, v24, v122 row_newbcast:2 row_mask:0xf bank_mask:0xf// 00000000F438: 0AF4F4FA FF015218
	v_mul_f32_dpp v123, v24, v123 row_newbcast:3 row_mask:0xf bank_mask:0xf// 00000000F440: 0AF6F6FA FF015318
	v_mul_f32_dpp v124, v24, v124 row_newbcast:0 row_mask:0xf bank_mask:0xf// 00000000F448: 0AF8F8FA FF015018
	v_mul_f32_dpp v125, v24, v125 row_newbcast:1 row_mask:0xf bank_mask:0xf// 00000000F450: 0AFAFAFA FF015118
	v_mul_f32_dpp v126, v24, v126 row_newbcast:2 row_mask:0xf bank_mask:0xf// 00000000F458: 0AFCFCFA FF015218
	v_mul_f32_dpp v127, v24, v127 row_newbcast:3 row_mask:0xf bank_mask:0xf// 00000000F460: 0AFEFEFA FF015318
	v_mul_f32_dpp v128, v24, v128 row_newbcast:0 row_mask:0xf bank_mask:0xf// 00000000F468: 0B0100FA FF015018
	v_mul_f32_dpp v129, v24, v129 row_newbcast:1 row_mask:0xf bank_mask:0xf// 00000000F470: 0B0302FA FF015118
	v_mul_f32_dpp v130, v24, v130 row_newbcast:2 row_mask:0xf bank_mask:0xf// 00000000F478: 0B0504FA FF015218
	v_mul_f32_dpp v131, v24, v131 row_newbcast:3 row_mask:0xf bank_mask:0xf// 00000000F480: 0B0706FA FF015318
	v_mul_f32_dpp v132, v24, v132 row_newbcast:4 row_mask:0xf bank_mask:0xf// 00000000F488: 0B0908FA FF015418
	v_mul_f32_dpp v133, v24, v133 row_newbcast:5 row_mask:0xf bank_mask:0xf// 00000000F490: 0B0B0AFA FF015518
	v_mul_f32_dpp v134, v24, v134 row_newbcast:6 row_mask:0xf bank_mask:0xf// 00000000F498: 0B0D0CFA FF015618
	v_mul_f32_dpp v135, v24, v135 row_newbcast:7 row_mask:0xf bank_mask:0xf// 00000000F4A0: 0B0F0EFA FF015718
	v_mul_f32_dpp v136, v24, v136 row_newbcast:4 row_mask:0xf bank_mask:0xf// 00000000F4A8: 0B1110FA FF015418
	v_mul_f32_dpp v137, v24, v137 row_newbcast:5 row_mask:0xf bank_mask:0xf// 00000000F4B0: 0B1312FA FF015518
	v_mul_f32_dpp v138, v24, v138 row_newbcast:6 row_mask:0xf bank_mask:0xf// 00000000F4B8: 0B1514FA FF015618
	v_mul_f32_dpp v139, v24, v139 row_newbcast:7 row_mask:0xf bank_mask:0xf// 00000000F4C0: 0B1716FA FF015718
	v_mul_f32_dpp v140, v24, v140 row_newbcast:4 row_mask:0xf bank_mask:0xf// 00000000F4C8: 0B1918FA FF015418
	v_mul_f32_dpp v141, v24, v141 row_newbcast:5 row_mask:0xf bank_mask:0xf// 00000000F4D0: 0B1B1AFA FF015518
	v_mul_f32_dpp v142, v24, v142 row_newbcast:6 row_mask:0xf bank_mask:0xf// 00000000F4D8: 0B1D1CFA FF015618
	v_mul_f32_dpp v143, v24, v143 row_newbcast:7 row_mask:0xf bank_mask:0xf// 00000000F4E0: 0B1F1EFA FF015718
	v_mul_f32_dpp v144, v24, v144 row_newbcast:4 row_mask:0xf bank_mask:0xf// 00000000F4E8: 0B2120FA FF015418
	v_mul_f32_dpp v145, v24, v145 row_newbcast:5 row_mask:0xf bank_mask:0xf// 00000000F4F0: 0B2322FA FF015518
	v_mul_f32_dpp v146, v24, v146 row_newbcast:6 row_mask:0xf bank_mask:0xf// 00000000F4F8: 0B2524FA FF015618
	v_mul_f32_dpp v147, v24, v147 row_newbcast:7 row_mask:0xf bank_mask:0xf// 00000000F500: 0B2726FA FF015718
	v_mul_f32_dpp v148, v24, v148 row_newbcast:4 row_mask:0xf bank_mask:0xf// 00000000F508: 0B2928FA FF015418
	v_mul_f32_dpp v149, v24, v149 row_newbcast:5 row_mask:0xf bank_mask:0xf// 00000000F510: 0B2B2AFA FF015518
	v_mul_f32_dpp v150, v24, v150 row_newbcast:6 row_mask:0xf bank_mask:0xf// 00000000F518: 0B2D2CFA FF015618
	v_mul_f32_dpp v151, v24, v151 row_newbcast:7 row_mask:0xf bank_mask:0xf// 00000000F520: 0B2F2EFA FF015718
	v_mul_f32_dpp v152, v24, v152 row_newbcast:4 row_mask:0xf bank_mask:0xf// 00000000F528: 0B3130FA FF015418
	v_mul_f32_dpp v153, v24, v153 row_newbcast:5 row_mask:0xf bank_mask:0xf// 00000000F530: 0B3332FA FF015518
	v_mul_f32_dpp v154, v24, v154 row_newbcast:6 row_mask:0xf bank_mask:0xf// 00000000F538: 0B3534FA FF015618
	v_mul_f32_dpp v155, v24, v155 row_newbcast:7 row_mask:0xf bank_mask:0xf// 00000000F540: 0B3736FA FF015718
	v_mul_f32_dpp v156, v24, v156 row_newbcast:4 row_mask:0xf bank_mask:0xf// 00000000F548: 0B3938FA FF015418
	v_mul_f32_dpp v157, v24, v157 row_newbcast:5 row_mask:0xf bank_mask:0xf// 00000000F550: 0B3B3AFA FF015518
	v_mul_f32_dpp v158, v24, v158 row_newbcast:6 row_mask:0xf bank_mask:0xf// 00000000F558: 0B3D3CFA FF015618
	v_mul_f32_dpp v159, v24, v159 row_newbcast:7 row_mask:0xf bank_mask:0xf// 00000000F560: 0B3F3EFA FF015718
	v_mul_f32_dpp v160, v24, v160 row_newbcast:4 row_mask:0xf bank_mask:0xf// 00000000F568: 0B4140FA FF015418
	v_mul_f32_dpp v161, v24, v161 row_newbcast:5 row_mask:0xf bank_mask:0xf// 00000000F570: 0B4342FA FF015518
	v_mul_f32_dpp v162, v24, v162 row_newbcast:6 row_mask:0xf bank_mask:0xf// 00000000F578: 0B4544FA FF015618
	v_mul_f32_dpp v163, v24, v163 row_newbcast:7 row_mask:0xf bank_mask:0xf// 00000000F580: 0B4746FA FF015718
	v_mul_f32_dpp v164, v24, v164 row_newbcast:4 row_mask:0xf bank_mask:0xf// 00000000F588: 0B4948FA FF015418
	v_mul_f32_dpp v165, v24, v165 row_newbcast:5 row_mask:0xf bank_mask:0xf// 00000000F590: 0B4B4AFA FF015518
	v_mul_f32_dpp v166, v24, v166 row_newbcast:6 row_mask:0xf bank_mask:0xf// 00000000F598: 0B4D4CFA FF015618
	v_mul_f32_dpp v167, v24, v167 row_newbcast:7 row_mask:0xf bank_mask:0xf// 00000000F5A0: 0B4F4EFA FF015718
	v_mul_f32_dpp v168, v24, v168 row_newbcast:4 row_mask:0xf bank_mask:0xf// 00000000F5A8: 0B5150FA FF015418
	v_mul_f32_dpp v169, v24, v169 row_newbcast:5 row_mask:0xf bank_mask:0xf// 00000000F5B0: 0B5352FA FF015518
	v_mul_f32_dpp v170, v24, v170 row_newbcast:6 row_mask:0xf bank_mask:0xf// 00000000F5B8: 0B5554FA FF015618
	v_mul_f32_dpp v171, v24, v171 row_newbcast:7 row_mask:0xf bank_mask:0xf// 00000000F5C0: 0B5756FA FF015718
	v_mul_f32_dpp v172, v27, v172 row_newbcast:0 row_mask:0xf bank_mask:0xf// 00000000F5C8: 0B5958FA FF01501B
	v_mul_f32_dpp v173, v27, v173 row_newbcast:1 row_mask:0xf bank_mask:0xf// 00000000F5D0: 0B5B5AFA FF01511B
	v_mul_f32_dpp v174, v27, v174 row_newbcast:2 row_mask:0xf bank_mask:0xf// 00000000F5D8: 0B5D5CFA FF01521B
	v_mul_f32_dpp v175, v27, v175 row_newbcast:3 row_mask:0xf bank_mask:0xf// 00000000F5E0: 0B5F5EFA FF01531B
	v_mul_f32_dpp v176, v27, v176 row_newbcast:0 row_mask:0xf bank_mask:0xf// 00000000F5E8: 0B6160FA FF01501B
	v_mul_f32_dpp v177, v27, v177 row_newbcast:1 row_mask:0xf bank_mask:0xf// 00000000F5F0: 0B6362FA FF01511B
	v_mul_f32_dpp v178, v27, v178 row_newbcast:2 row_mask:0xf bank_mask:0xf// 00000000F5F8: 0B6564FA FF01521B
	v_mul_f32_dpp v179, v27, v179 row_newbcast:3 row_mask:0xf bank_mask:0xf// 00000000F600: 0B6766FA FF01531B
	v_mul_f32_dpp v180, v27, v180 row_newbcast:0 row_mask:0xf bank_mask:0xf// 00000000F608: 0B6968FA FF01501B
	v_mul_f32_dpp v181, v27, v181 row_newbcast:1 row_mask:0xf bank_mask:0xf// 00000000F610: 0B6B6AFA FF01511B
	v_mul_f32_dpp v182, v27, v182 row_newbcast:2 row_mask:0xf bank_mask:0xf// 00000000F618: 0B6D6CFA FF01521B
	v_mul_f32_dpp v183, v27, v183 row_newbcast:3 row_mask:0xf bank_mask:0xf// 00000000F620: 0B6F6EFA FF01531B
	v_mul_f32_dpp v184, v27, v184 row_newbcast:0 row_mask:0xf bank_mask:0xf// 00000000F628: 0B7170FA FF01501B
	v_mul_f32_dpp v185, v27, v185 row_newbcast:1 row_mask:0xf bank_mask:0xf// 00000000F630: 0B7372FA FF01511B
	v_mul_f32_dpp v186, v27, v186 row_newbcast:2 row_mask:0xf bank_mask:0xf// 00000000F638: 0B7574FA FF01521B
	v_mul_f32_dpp v187, v27, v187 row_newbcast:3 row_mask:0xf bank_mask:0xf// 00000000F640: 0B7776FA FF01531B
	v_mul_f32_dpp v188, v27, v188 row_newbcast:0 row_mask:0xf bank_mask:0xf// 00000000F648: 0B7978FA FF01501B
	v_mul_f32_dpp v189, v27, v189 row_newbcast:1 row_mask:0xf bank_mask:0xf// 00000000F650: 0B7B7AFA FF01511B
	v_mul_f32_dpp v190, v27, v190 row_newbcast:2 row_mask:0xf bank_mask:0xf// 00000000F658: 0B7D7CFA FF01521B
	v_mul_f32_dpp v191, v27, v191 row_newbcast:3 row_mask:0xf bank_mask:0xf// 00000000F660: 0B7F7EFA FF01531B
	v_mul_f32_dpp v192, v27, v192 row_newbcast:0 row_mask:0xf bank_mask:0xf// 00000000F668: 0B8180FA FF01501B
	v_mul_f32_dpp v193, v27, v193 row_newbcast:1 row_mask:0xf bank_mask:0xf// 00000000F670: 0B8382FA FF01511B
	v_mul_f32_dpp v194, v27, v194 row_newbcast:2 row_mask:0xf bank_mask:0xf// 00000000F678: 0B8584FA FF01521B
	v_mul_f32_dpp v195, v27, v195 row_newbcast:3 row_mask:0xf bank_mask:0xf// 00000000F680: 0B8786FA FF01531B
	v_mul_f32_dpp v196, v27, v196 row_newbcast:0 row_mask:0xf bank_mask:0xf// 00000000F688: 0B8988FA FF01501B
	v_mul_f32_dpp v197, v27, v197 row_newbcast:1 row_mask:0xf bank_mask:0xf// 00000000F690: 0B8B8AFA FF01511B
	v_mul_f32_dpp v198, v27, v198 row_newbcast:2 row_mask:0xf bank_mask:0xf// 00000000F698: 0B8D8CFA FF01521B
	v_mul_f32_dpp v199, v27, v199 row_newbcast:3 row_mask:0xf bank_mask:0xf// 00000000F6A0: 0B8F8EFA FF01531B
	v_mul_f32_dpp v200, v27, v200 row_newbcast:0 row_mask:0xf bank_mask:0xf// 00000000F6A8: 0B9190FA FF01501B
	v_mul_f32_dpp v201, v27, v201 row_newbcast:1 row_mask:0xf bank_mask:0xf// 00000000F6B0: 0B9392FA FF01511B
	v_mul_f32_dpp v202, v27, v202 row_newbcast:2 row_mask:0xf bank_mask:0xf// 00000000F6B8: 0B9594FA FF01521B
	v_mul_f32_dpp v203, v27, v203 row_newbcast:3 row_mask:0xf bank_mask:0xf// 00000000F6C0: 0B9796FA FF01531B
	v_mul_f32_dpp v204, v27, v204 row_newbcast:0 row_mask:0xf bank_mask:0xf// 00000000F6C8: 0B9998FA FF01501B
	v_mul_f32_dpp v205, v27, v205 row_newbcast:1 row_mask:0xf bank_mask:0xf// 00000000F6D0: 0B9B9AFA FF01511B
	v_mul_f32_dpp v206, v27, v206 row_newbcast:2 row_mask:0xf bank_mask:0xf// 00000000F6D8: 0B9D9CFA FF01521B
	v_mul_f32_dpp v207, v27, v207 row_newbcast:3 row_mask:0xf bank_mask:0xf// 00000000F6E0: 0B9F9EFA FF01531B
	v_mul_f32_dpp v208, v27, v208 row_newbcast:0 row_mask:0xf bank_mask:0xf// 00000000F6E8: 0BA1A0FA FF01501B
	v_mul_f32_dpp v209, v27, v209 row_newbcast:1 row_mask:0xf bank_mask:0xf// 00000000F6F0: 0BA3A2FA FF01511B
	v_mul_f32_dpp v210, v27, v210 row_newbcast:2 row_mask:0xf bank_mask:0xf// 00000000F6F8: 0BA5A4FA FF01521B
	v_mul_f32_dpp v211, v27, v211 row_newbcast:3 row_mask:0xf bank_mask:0xf// 00000000F700: 0BA7A6FA FF01531B
	v_mul_f32_dpp v212, v27, v212 row_newbcast:4 row_mask:0xf bank_mask:0xf// 00000000F708: 0BA9A8FA FF01541B
	v_mul_f32_dpp v213, v27, v213 row_newbcast:5 row_mask:0xf bank_mask:0xf// 00000000F710: 0BABAAFA FF01551B
	v_mul_f32_dpp v214, v27, v214 row_newbcast:6 row_mask:0xf bank_mask:0xf// 00000000F718: 0BADACFA FF01561B
	v_mul_f32_dpp v215, v27, v215 row_newbcast:7 row_mask:0xf bank_mask:0xf// 00000000F720: 0BAFAEFA FF01571B
	v_mul_f32_dpp v216, v27, v216 row_newbcast:4 row_mask:0xf bank_mask:0xf// 00000000F728: 0BB1B0FA FF01541B
	v_mul_f32_dpp v217, v27, v217 row_newbcast:5 row_mask:0xf bank_mask:0xf// 00000000F730: 0BB3B2FA FF01551B
	v_mul_f32_dpp v218, v27, v218 row_newbcast:6 row_mask:0xf bank_mask:0xf// 00000000F738: 0BB5B4FA FF01561B
	v_mul_f32_dpp v219, v27, v219 row_newbcast:7 row_mask:0xf bank_mask:0xf// 00000000F740: 0BB7B6FA FF01571B
	v_mul_f32_dpp v220, v27, v220 row_newbcast:4 row_mask:0xf bank_mask:0xf// 00000000F748: 0BB9B8FA FF01541B
	v_mul_f32_dpp v221, v27, v221 row_newbcast:5 row_mask:0xf bank_mask:0xf// 00000000F750: 0BBBBAFA FF01551B
	v_mul_f32_dpp v222, v27, v222 row_newbcast:6 row_mask:0xf bank_mask:0xf// 00000000F758: 0BBDBCFA FF01561B
	v_mul_f32_dpp v223, v27, v223 row_newbcast:7 row_mask:0xf bank_mask:0xf// 00000000F760: 0BBFBEFA FF01571B
	v_mul_f32_dpp v224, v27, v224 row_newbcast:4 row_mask:0xf bank_mask:0xf// 00000000F768: 0BC1C0FA FF01541B
	v_mul_f32_dpp v225, v27, v225 row_newbcast:5 row_mask:0xf bank_mask:0xf// 00000000F770: 0BC3C2FA FF01551B
	v_mul_f32_dpp v226, v27, v226 row_newbcast:6 row_mask:0xf bank_mask:0xf// 00000000F778: 0BC5C4FA FF01561B
	v_mul_f32_dpp v227, v27, v227 row_newbcast:7 row_mask:0xf bank_mask:0xf// 00000000F780: 0BC7C6FA FF01571B
	v_mul_f32_dpp v228, v27, v228 row_newbcast:4 row_mask:0xf bank_mask:0xf// 00000000F788: 0BC9C8FA FF01541B
	v_mul_f32_dpp v229, v27, v229 row_newbcast:5 row_mask:0xf bank_mask:0xf// 00000000F790: 0BCBCAFA FF01551B
	v_mul_f32_dpp v230, v27, v230 row_newbcast:6 row_mask:0xf bank_mask:0xf// 00000000F798: 0BCDCCFA FF01561B
	v_mul_f32_dpp v231, v27, v231 row_newbcast:7 row_mask:0xf bank_mask:0xf// 00000000F7A0: 0BCFCEFA FF01571B
	v_mul_f32_dpp v232, v27, v232 row_newbcast:4 row_mask:0xf bank_mask:0xf// 00000000F7A8: 0BD1D0FA FF01541B
	v_mul_f32_dpp v233, v27, v233 row_newbcast:5 row_mask:0xf bank_mask:0xf// 00000000F7B0: 0BD3D2FA FF01551B
	v_mul_f32_dpp v234, v27, v234 row_newbcast:6 row_mask:0xf bank_mask:0xf// 00000000F7B8: 0BD5D4FA FF01561B
	v_mul_f32_dpp v235, v27, v235 row_newbcast:7 row_mask:0xf bank_mask:0xf// 00000000F7C0: 0BD7D6FA FF01571B
	v_mul_f32_dpp v236, v27, v236 row_newbcast:4 row_mask:0xf bank_mask:0xf// 00000000F7C8: 0BD9D8FA FF01541B
	v_mul_f32_dpp v237, v27, v237 row_newbcast:5 row_mask:0xf bank_mask:0xf// 00000000F7D0: 0BDBDAFA FF01551B
	v_mul_f32_dpp v238, v27, v238 row_newbcast:6 row_mask:0xf bank_mask:0xf// 00000000F7D8: 0BDDDCFA FF01561B
	v_mul_f32_dpp v239, v27, v239 row_newbcast:7 row_mask:0xf bank_mask:0xf// 00000000F7E0: 0BDFDEFA FF01571B
	v_mul_f32_dpp v240, v27, v240 row_newbcast:4 row_mask:0xf bank_mask:0xf// 00000000F7E8: 0BE1E0FA FF01541B
	v_mul_f32_dpp v241, v27, v241 row_newbcast:5 row_mask:0xf bank_mask:0xf// 00000000F7F0: 0BE3E2FA FF01551B
	v_mul_f32_dpp v242, v27, v242 row_newbcast:6 row_mask:0xf bank_mask:0xf// 00000000F7F8: 0BE5E4FA FF01561B
	v_mul_f32_dpp v243, v27, v243 row_newbcast:7 row_mask:0xf bank_mask:0xf// 00000000F800: 0BE7E6FA FF01571B
	v_mul_f32_dpp v244, v27, v244 row_newbcast:4 row_mask:0xf bank_mask:0xf// 00000000F808: 0BE9E8FA FF01541B
	v_mul_f32_dpp v245, v27, v245 row_newbcast:5 row_mask:0xf bank_mask:0xf// 00000000F810: 0BEBEAFA FF01551B
	v_mul_f32_dpp v246, v27, v246 row_newbcast:6 row_mask:0xf bank_mask:0xf// 00000000F818: 0BEDECFA FF01561B
	v_mul_f32_dpp v247, v27, v247 row_newbcast:7 row_mask:0xf bank_mask:0xf// 00000000F820: 0BEFEEFA FF01571B
	v_mul_f32_dpp v248, v27, v248 row_newbcast:4 row_mask:0xf bank_mask:0xf// 00000000F828: 0BF1F0FA FF01541B
	v_mul_f32_dpp v249, v27, v249 row_newbcast:5 row_mask:0xf bank_mask:0xf// 00000000F830: 0BF3F2FA FF01551B
	v_mul_f32_dpp v250, v27, v250 row_newbcast:6 row_mask:0xf bank_mask:0xf// 00000000F838: 0BF5F4FA FF01561B
	v_mul_f32_dpp v251, v27, v251 row_newbcast:7 row_mask:0xf bank_mask:0xf// 00000000F840: 0BF7F6FA FF01571B
	v_mov_b32_e32 v4, v40                                      // 00000000F848: 7E080328
	v_mov_b32_e32 v5, v4                                       // 00000000F84C: 7E0A0304
	v_pk_mul_f32 v[92:93], v[4:5], v[92:93]                    // 00000000F850: D3B1405C 1802B904
	v_pk_mul_f32 v[172:173], v[4:5], v[172:173]                // 00000000F858: D3B140AC 18035904
	v_pk_mul_f32 v[94:95], v[4:5], v[94:95]                    // 00000000F860: D3B1405E 1802BD04
	v_pk_mul_f32 v[174:175], v[4:5], v[174:175]                // 00000000F868: D3B140AE 18035D04
	v_pk_mul_f32 v[132:133], v[4:5], v[132:133]                // 00000000F870: D3B14084 18030904
	v_pk_mul_f32 v[212:213], v[4:5], v[212:213]                // 00000000F878: D3B140D4 1803A904
	v_pk_mul_f32 v[134:135], v[4:5], v[134:135]                // 00000000F880: D3B14086 18030D04
	v_pk_mul_f32 v[214:215], v[4:5], v[214:215]                // 00000000F888: D3B140D6 1803AD04
	v_mov_b32_e32 v4, v41                                      // 00000000F890: 7E080329
	v_mov_b32_e32 v5, v4                                       // 00000000F894: 7E0A0304
	v_pk_mul_f32 v[96:97], v[4:5], v[96:97]                    // 00000000F898: D3B14060 1802C104
	v_pk_mul_f32 v[176:177], v[4:5], v[176:177]                // 00000000F8A0: D3B140B0 18036104
	v_pk_mul_f32 v[98:99], v[4:5], v[98:99]                    // 00000000F8A8: D3B14062 1802C504
	v_pk_mul_f32 v[178:179], v[4:5], v[178:179]                // 00000000F8B0: D3B140B2 18036504
	v_pk_mul_f32 v[136:137], v[4:5], v[136:137]                // 00000000F8B8: D3B14088 18031104
	v_pk_mul_f32 v[216:217], v[4:5], v[216:217]                // 00000000F8C0: D3B140D8 1803B104
	v_pk_mul_f32 v[138:139], v[4:5], v[138:139]                // 00000000F8C8: D3B1408A 18031504
	v_pk_mul_f32 v[218:219], v[4:5], v[218:219]                // 00000000F8D0: D3B140DA 1803B504
	v_mov_b32_e32 v4, v42                                      // 00000000F8D8: 7E08032A
	v_mov_b32_e32 v5, v4                                       // 00000000F8DC: 7E0A0304
	v_pk_mul_f32 v[100:101], v[4:5], v[100:101]                // 00000000F8E0: D3B14064 1802C904
	v_pk_mul_f32 v[180:181], v[4:5], v[180:181]                // 00000000F8E8: D3B140B4 18036904
	v_pk_mul_f32 v[102:103], v[4:5], v[102:103]                // 00000000F8F0: D3B14066 1802CD04
	v_pk_mul_f32 v[182:183], v[4:5], v[182:183]                // 00000000F8F8: D3B140B6 18036D04
	v_pk_mul_f32 v[140:141], v[4:5], v[140:141]                // 00000000F900: D3B1408C 18031904
	v_pk_mul_f32 v[220:221], v[4:5], v[220:221]                // 00000000F908: D3B140DC 1803B904
	v_pk_mul_f32 v[142:143], v[4:5], v[142:143]                // 00000000F910: D3B1408E 18031D04
	v_pk_mul_f32 v[222:223], v[4:5], v[222:223]                // 00000000F918: D3B140DE 1803BD04
	v_mov_b32_e32 v4, v43                                      // 00000000F920: 7E08032B
	v_mov_b32_e32 v5, v4                                       // 00000000F924: 7E0A0304
	v_pk_mul_f32 v[104:105], v[4:5], v[104:105]                // 00000000F928: D3B14068 1802D104
	v_pk_mul_f32 v[184:185], v[4:5], v[184:185]                // 00000000F930: D3B140B8 18037104
	v_pk_mul_f32 v[106:107], v[4:5], v[106:107]                // 00000000F938: D3B1406A 1802D504
	v_pk_mul_f32 v[186:187], v[4:5], v[186:187]                // 00000000F940: D3B140BA 18037504
	v_pk_mul_f32 v[144:145], v[4:5], v[144:145]                // 00000000F948: D3B14090 18032104
	v_pk_mul_f32 v[224:225], v[4:5], v[224:225]                // 00000000F950: D3B140E0 1803C104
	v_pk_mul_f32 v[146:147], v[4:5], v[146:147]                // 00000000F958: D3B14092 18032504
	v_pk_mul_f32 v[226:227], v[4:5], v[226:227]                // 00000000F960: D3B140E2 1803C504
	v_mov_b32_e32 v4, v44                                      // 00000000F968: 7E08032C
	v_mov_b32_e32 v5, v4                                       // 00000000F96C: 7E0A0304
	v_pk_mul_f32 v[108:109], v[4:5], v[108:109]                // 00000000F970: D3B1406C 1802D904
	v_pk_mul_f32 v[188:189], v[4:5], v[188:189]                // 00000000F978: D3B140BC 18037904
	v_pk_mul_f32 v[110:111], v[4:5], v[110:111]                // 00000000F980: D3B1406E 1802DD04
	v_pk_mul_f32 v[190:191], v[4:5], v[190:191]                // 00000000F988: D3B140BE 18037D04
	v_pk_mul_f32 v[148:149], v[4:5], v[148:149]                // 00000000F990: D3B14094 18032904
	v_pk_mul_f32 v[228:229], v[4:5], v[228:229]                // 00000000F998: D3B140E4 1803C904
	v_pk_mul_f32 v[150:151], v[4:5], v[150:151]                // 00000000F9A0: D3B14096 18032D04
	v_pk_mul_f32 v[230:231], v[4:5], v[230:231]                // 00000000F9A8: D3B140E6 1803CD04
	v_mov_b32_e32 v4, v45                                      // 00000000F9B0: 7E08032D
	v_mov_b32_e32 v5, v4                                       // 00000000F9B4: 7E0A0304
	v_pk_mul_f32 v[112:113], v[4:5], v[112:113]                // 00000000F9B8: D3B14070 1802E104
	v_pk_mul_f32 v[192:193], v[4:5], v[192:193]                // 00000000F9C0: D3B140C0 18038104
	v_pk_mul_f32 v[114:115], v[4:5], v[114:115]                // 00000000F9C8: D3B14072 1802E504
	v_pk_mul_f32 v[194:195], v[4:5], v[194:195]                // 00000000F9D0: D3B140C2 18038504
	v_pk_mul_f32 v[152:153], v[4:5], v[152:153]                // 00000000F9D8: D3B14098 18033104
	v_pk_mul_f32 v[232:233], v[4:5], v[232:233]                // 00000000F9E0: D3B140E8 1803D104
	v_pk_mul_f32 v[154:155], v[4:5], v[154:155]                // 00000000F9E8: D3B1409A 18033504
	v_pk_mul_f32 v[234:235], v[4:5], v[234:235]                // 00000000F9F0: D3B140EA 1803D504
	v_mov_b32_e32 v4, v46                                      // 00000000F9F8: 7E08032E
	v_mov_b32_e32 v5, v4                                       // 00000000F9FC: 7E0A0304
	v_pk_mul_f32 v[116:117], v[4:5], v[116:117]                // 00000000FA00: D3B14074 1802E904
	v_pk_mul_f32 v[196:197], v[4:5], v[196:197]                // 00000000FA08: D3B140C4 18038904
	v_pk_mul_f32 v[118:119], v[4:5], v[118:119]                // 00000000FA10: D3B14076 1802ED04
	v_pk_mul_f32 v[198:199], v[4:5], v[198:199]                // 00000000FA18: D3B140C6 18038D04
	v_pk_mul_f32 v[156:157], v[4:5], v[156:157]                // 00000000FA20: D3B1409C 18033904
	v_pk_mul_f32 v[236:237], v[4:5], v[236:237]                // 00000000FA28: D3B140EC 1803D904
	v_pk_mul_f32 v[158:159], v[4:5], v[158:159]                // 00000000FA30: D3B1409E 18033D04
	v_pk_mul_f32 v[238:239], v[4:5], v[238:239]                // 00000000FA38: D3B140EE 1803DD04
	v_mov_b32_e32 v4, v47                                      // 00000000FA40: 7E08032F
	v_mov_b32_e32 v5, v4                                       // 00000000FA44: 7E0A0304
	v_pk_mul_f32 v[120:121], v[4:5], v[120:121]                // 00000000FA48: D3B14078 1802F104
	v_pk_mul_f32 v[200:201], v[4:5], v[200:201]                // 00000000FA50: D3B140C8 18039104
	v_pk_mul_f32 v[122:123], v[4:5], v[122:123]                // 00000000FA58: D3B1407A 1802F504
	v_pk_mul_f32 v[202:203], v[4:5], v[202:203]                // 00000000FA60: D3B140CA 18039504
	v_pk_mul_f32 v[160:161], v[4:5], v[160:161]                // 00000000FA68: D3B140A0 18034104
	v_pk_mul_f32 v[240:241], v[4:5], v[240:241]                // 00000000FA70: D3B140F0 1803E104
	v_pk_mul_f32 v[162:163], v[4:5], v[162:163]                // 00000000FA78: D3B140A2 18034504
	v_pk_mul_f32 v[242:243], v[4:5], v[242:243]                // 00000000FA80: D3B140F2 1803E504
	v_mov_b32_e32 v4, v48                                      // 00000000FA88: 7E080330
	v_mov_b32_e32 v5, v4                                       // 00000000FA8C: 7E0A0304
	v_pk_mul_f32 v[124:125], v[4:5], v[124:125]                // 00000000FA90: D3B1407C 1802F904
	v_pk_mul_f32 v[204:205], v[4:5], v[204:205]                // 00000000FA98: D3B140CC 18039904
	v_pk_mul_f32 v[126:127], v[4:5], v[126:127]                // 00000000FAA0: D3B1407E 1802FD04
	v_pk_mul_f32 v[206:207], v[4:5], v[206:207]                // 00000000FAA8: D3B140CE 18039D04
	v_pk_mul_f32 v[164:165], v[4:5], v[164:165]                // 00000000FAB0: D3B140A4 18034904
	v_pk_mul_f32 v[244:245], v[4:5], v[244:245]                // 00000000FAB8: D3B140F4 1803E904
	v_pk_mul_f32 v[166:167], v[4:5], v[166:167]                // 00000000FAC0: D3B140A6 18034D04
	v_pk_mul_f32 v[246:247], v[4:5], v[246:247]                // 00000000FAC8: D3B140F6 1803ED04
	v_mov_b32_e32 v4, v49                                      // 00000000FAD0: 7E080331
	v_mov_b32_e32 v5, v4                                       // 00000000FAD4: 7E0A0304
	v_pk_mul_f32 v[128:129], v[4:5], v[128:129]                // 00000000FAD8: D3B14080 18030104
	v_pk_mul_f32 v[208:209], v[4:5], v[208:209]                // 00000000FAE0: D3B140D0 1803A104
	v_pk_mul_f32 v[130:131], v[4:5], v[130:131]                // 00000000FAE8: D3B14082 18030504
	v_pk_mul_f32 v[210:211], v[4:5], v[210:211]                // 00000000FAF0: D3B140D2 1803A504
	v_pk_mul_f32 v[168:169], v[4:5], v[168:169]                // 00000000FAF8: D3B140A8 18035104
	v_pk_mul_f32 v[248:249], v[4:5], v[248:249]                // 00000000FB00: D3B140F8 1803F104
	v_pk_mul_f32 v[170:171], v[4:5], v[170:171]                // 00000000FB08: D3B140AA 18035504
	v_pk_mul_f32 v[250:251], v[4:5], v[250:251]                // 00000000FB10: D3B140FA 1803F504
	s_cmp_eq_u32 s88, 0                                        // 00000000FB18: BF068058
	s_cbranch_scc0 label_3FFC                                  // 00000000FB1C: BF840BB1
	s_cmp_eq_u32 s89, 0                                        // 00000000FB20: BF068059
	s_cbranch_scc1 label_3772                                  // 00000000FB24: BF850325
	v_mov_b32_e32 v8, v1                                       // 00000000FB28: 7E100301
	v_mov_b32_e32 v9, v1                                       // 00000000FB2C: 7E120301
	s_mov_b32 s60, s6                                          // 00000000FB30: BEBC0006
	s_mov_b32 s61, s6                                          // 00000000FB34: BEBD0006
	v_pk_mul_f32 v[4:5], v[92:93], v[92:93]                    // 00000000FB38: D3B14004 1802B95C
	v_pk_mul_f32 v[6:7], v[94:95], v[94:95]                    // 00000000FB40: D3B14006 1802BD5E
	v_pk_fma_f32 v[4:5], v[4:5], s[78:79], v[8:9]              // 00000000FB48: D3B04004 1C209D04
	v_pk_fma_f32 v[6:7], v[6:7], s[78:79], v[8:9]              // 00000000FB50: D3B04006 1C209D06
	v_pk_mul_f32 v[4:5], v[4:5], v[92:93]                      // 00000000FB58: D3B14004 1802B904
	v_pk_mul_f32 v[6:7], v[6:7], v[94:95]                      // 00000000FB60: D3B14006 1802BD06
	v_pk_mul_f32 v[4:5], v[4:5], s[60:61]                      // 00000000FB68: D3B14004 18007904
	v_pk_mul_f32 v[6:7], v[6:7], s[60:61]                      // 00000000FB70: D3B14006 18007906
	v_exp_f32_e32 v4, v4                                       // 00000000FB78: 7E084104
	v_exp_f32_e32 v5, v5                                       // 00000000FB7C: 7E0A4105
	v_exp_f32_e32 v6, v6                                       // 00000000FB80: 7E0C4106
	v_exp_f32_e32 v7, v7                                       // 00000000FB84: 7E0E4107
	v_add_f32_e64 v4, v4, 1.0                                  // 00000000FB88: D1010004 0001E504
	v_add_f32_e64 v5, v5, 1.0                                  // 00000000FB90: D1010005 0001E505
	v_add_f32_e64 v6, v6, 1.0                                  // 00000000FB98: D1010006 0001E506
	v_add_f32_e64 v7, v7, 1.0                                  // 00000000FBA0: D1010007 0001E507
	v_rcp_f32_e32 v4, v4                                       // 00000000FBA8: 7E084504
	v_rcp_f32_e32 v5, v5                                       // 00000000FBAC: 7E0A4505
	v_rcp_f32_e32 v6, v6                                       // 00000000FBB0: 7E0C4506
	v_rcp_f32_e32 v7, v7                                       // 00000000FBB4: 7E0E4507
	v_mul_f32_e32 v92, v92, v4                                 // 00000000FBB8: 0AB8095C
	v_mul_f32_e32 v93, v93, v5                                 // 00000000FBBC: 0ABA0B5D
	v_mul_f32_e32 v94, v94, v6                                 // 00000000FBC0: 0ABC0D5E
	v_mul_f32_e32 v95, v95, v7                                 // 00000000FBC4: 0ABE0F5F
	v_mul_f32_e32 v92, v92, v172                               // 00000000FBC8: 0AB9595C
	v_mul_f32_e32 v93, v93, v173                               // 00000000FBCC: 0ABB5B5D
	v_mul_f32_e32 v94, v94, v174                               // 00000000FBD0: 0ABD5D5E
	v_mul_f32_e32 v95, v95, v175                               // 00000000FBD4: 0ABF5F5F
	v_pk_mul_f32 v[4:5], v[96:97], v[96:97]                    // 00000000FBD8: D3B14004 1802C160
	v_pk_mul_f32 v[6:7], v[98:99], v[98:99]                    // 00000000FBE0: D3B14006 1802C562
	v_pk_fma_f32 v[4:5], v[4:5], s[78:79], v[8:9]              // 00000000FBE8: D3B04004 1C209D04
	v_pk_fma_f32 v[6:7], v[6:7], s[78:79], v[8:9]              // 00000000FBF0: D3B04006 1C209D06
	v_pk_mul_f32 v[4:5], v[4:5], v[96:97]                      // 00000000FBF8: D3B14004 1802C104
	v_pk_mul_f32 v[6:7], v[6:7], v[98:99]                      // 00000000FC00: D3B14006 1802C506
	v_pk_mul_f32 v[4:5], v[4:5], s[60:61]                      // 00000000FC08: D3B14004 18007904
	v_pk_mul_f32 v[6:7], v[6:7], s[60:61]                      // 00000000FC10: D3B14006 18007906
	v_exp_f32_e32 v4, v4                                       // 00000000FC18: 7E084104
	v_exp_f32_e32 v5, v5                                       // 00000000FC1C: 7E0A4105
	v_exp_f32_e32 v6, v6                                       // 00000000FC20: 7E0C4106
	v_exp_f32_e32 v7, v7                                       // 00000000FC24: 7E0E4107
	v_add_f32_e64 v4, v4, 1.0                                  // 00000000FC28: D1010004 0001E504
	v_add_f32_e64 v5, v5, 1.0                                  // 00000000FC30: D1010005 0001E505
	v_add_f32_e64 v6, v6, 1.0                                  // 00000000FC38: D1010006 0001E506
	v_add_f32_e64 v7, v7, 1.0                                  // 00000000FC40: D1010007 0001E507
	v_rcp_f32_e32 v4, v4                                       // 00000000FC48: 7E084504
	v_rcp_f32_e32 v5, v5                                       // 00000000FC4C: 7E0A4505
	v_rcp_f32_e32 v6, v6                                       // 00000000FC50: 7E0C4506
	v_rcp_f32_e32 v7, v7                                       // 00000000FC54: 7E0E4507
	v_mul_f32_e32 v96, v96, v4                                 // 00000000FC58: 0AC00960
	v_mul_f32_e32 v97, v97, v5                                 // 00000000FC5C: 0AC20B61
	v_mul_f32_e32 v98, v98, v6                                 // 00000000FC60: 0AC40D62
	v_mul_f32_e32 v99, v99, v7                                 // 00000000FC64: 0AC60F63
	v_mul_f32_e32 v96, v96, v176                               // 00000000FC68: 0AC16160
	v_mul_f32_e32 v97, v97, v177                               // 00000000FC6C: 0AC36361
	v_mul_f32_e32 v98, v98, v178                               // 00000000FC70: 0AC56562
	v_mul_f32_e32 v99, v99, v179                               // 00000000FC74: 0AC76763
	v_pk_mul_f32 v[4:5], v[100:101], v[100:101]                // 00000000FC78: D3B14004 1802C964
	v_pk_mul_f32 v[6:7], v[102:103], v[102:103]                // 00000000FC80: D3B14006 1802CD66
	v_pk_fma_f32 v[4:5], v[4:5], s[78:79], v[8:9]              // 00000000FC88: D3B04004 1C209D04
	v_pk_fma_f32 v[6:7], v[6:7], s[78:79], v[8:9]              // 00000000FC90: D3B04006 1C209D06
	v_pk_mul_f32 v[4:5], v[4:5], v[100:101]                    // 00000000FC98: D3B14004 1802C904
	v_pk_mul_f32 v[6:7], v[6:7], v[102:103]                    // 00000000FCA0: D3B14006 1802CD06
	v_pk_mul_f32 v[4:5], v[4:5], s[60:61]                      // 00000000FCA8: D3B14004 18007904
	v_pk_mul_f32 v[6:7], v[6:7], s[60:61]                      // 00000000FCB0: D3B14006 18007906
	v_exp_f32_e32 v4, v4                                       // 00000000FCB8: 7E084104
	v_exp_f32_e32 v5, v5                                       // 00000000FCBC: 7E0A4105
	v_exp_f32_e32 v6, v6                                       // 00000000FCC0: 7E0C4106
	v_exp_f32_e32 v7, v7                                       // 00000000FCC4: 7E0E4107
	v_add_f32_e64 v4, v4, 1.0                                  // 00000000FCC8: D1010004 0001E504
	v_add_f32_e64 v5, v5, 1.0                                  // 00000000FCD0: D1010005 0001E505
	v_add_f32_e64 v6, v6, 1.0                                  // 00000000FCD8: D1010006 0001E506
	v_add_f32_e64 v7, v7, 1.0                                  // 00000000FCE0: D1010007 0001E507
	v_rcp_f32_e32 v4, v4                                       // 00000000FCE8: 7E084504
	v_rcp_f32_e32 v5, v5                                       // 00000000FCEC: 7E0A4505
	v_rcp_f32_e32 v6, v6                                       // 00000000FCF0: 7E0C4506
	v_rcp_f32_e32 v7, v7                                       // 00000000FCF4: 7E0E4507
	v_mul_f32_e32 v100, v100, v4                               // 00000000FCF8: 0AC80964
	v_mul_f32_e32 v101, v101, v5                               // 00000000FCFC: 0ACA0B65
	v_mul_f32_e32 v102, v102, v6                               // 00000000FD00: 0ACC0D66
	v_mul_f32_e32 v103, v103, v7                               // 00000000FD04: 0ACE0F67
	v_mul_f32_e32 v100, v100, v180                             // 00000000FD08: 0AC96964
	v_mul_f32_e32 v101, v101, v181                             // 00000000FD0C: 0ACB6B65
	v_mul_f32_e32 v102, v102, v182                             // 00000000FD10: 0ACD6D66
	v_mul_f32_e32 v103, v103, v183                             // 00000000FD14: 0ACF6F67
	v_pk_mul_f32 v[4:5], v[104:105], v[104:105]                // 00000000FD18: D3B14004 1802D168
	v_pk_mul_f32 v[6:7], v[106:107], v[106:107]                // 00000000FD20: D3B14006 1802D56A
	v_pk_fma_f32 v[4:5], v[4:5], s[78:79], v[8:9]              // 00000000FD28: D3B04004 1C209D04
	v_pk_fma_f32 v[6:7], v[6:7], s[78:79], v[8:9]              // 00000000FD30: D3B04006 1C209D06
	v_pk_mul_f32 v[4:5], v[4:5], v[104:105]                    // 00000000FD38: D3B14004 1802D104
	v_pk_mul_f32 v[6:7], v[6:7], v[106:107]                    // 00000000FD40: D3B14006 1802D506
	v_pk_mul_f32 v[4:5], v[4:5], s[60:61]                      // 00000000FD48: D3B14004 18007904
	v_pk_mul_f32 v[6:7], v[6:7], s[60:61]                      // 00000000FD50: D3B14006 18007906
	v_exp_f32_e32 v4, v4                                       // 00000000FD58: 7E084104
	v_exp_f32_e32 v5, v5                                       // 00000000FD5C: 7E0A4105
	v_exp_f32_e32 v6, v6                                       // 00000000FD60: 7E0C4106
	v_exp_f32_e32 v7, v7                                       // 00000000FD64: 7E0E4107
	v_add_f32_e64 v4, v4, 1.0                                  // 00000000FD68: D1010004 0001E504
	v_add_f32_e64 v5, v5, 1.0                                  // 00000000FD70: D1010005 0001E505
	v_add_f32_e64 v6, v6, 1.0                                  // 00000000FD78: D1010006 0001E506
	v_add_f32_e64 v7, v7, 1.0                                  // 00000000FD80: D1010007 0001E507
	v_rcp_f32_e32 v4, v4                                       // 00000000FD88: 7E084504
	v_rcp_f32_e32 v5, v5                                       // 00000000FD8C: 7E0A4505
	v_rcp_f32_e32 v6, v6                                       // 00000000FD90: 7E0C4506
	v_rcp_f32_e32 v7, v7                                       // 00000000FD94: 7E0E4507
	v_mul_f32_e32 v104, v104, v4                               // 00000000FD98: 0AD00968
	v_mul_f32_e32 v105, v105, v5                               // 00000000FD9C: 0AD20B69
	v_mul_f32_e32 v106, v106, v6                               // 00000000FDA0: 0AD40D6A
	v_mul_f32_e32 v107, v107, v7                               // 00000000FDA4: 0AD60F6B
	v_mul_f32_e32 v104, v104, v184                             // 00000000FDA8: 0AD17168
	v_mul_f32_e32 v105, v105, v185                             // 00000000FDAC: 0AD37369
	v_mul_f32_e32 v106, v106, v186                             // 00000000FDB0: 0AD5756A
	v_mul_f32_e32 v107, v107, v187                             // 00000000FDB4: 0AD7776B
	v_pk_mul_f32 v[4:5], v[108:109], v[108:109]                // 00000000FDB8: D3B14004 1802D96C
	v_pk_mul_f32 v[6:7], v[110:111], v[110:111]                // 00000000FDC0: D3B14006 1802DD6E
	v_pk_fma_f32 v[4:5], v[4:5], s[78:79], v[8:9]              // 00000000FDC8: D3B04004 1C209D04
	v_pk_fma_f32 v[6:7], v[6:7], s[78:79], v[8:9]              // 00000000FDD0: D3B04006 1C209D06
	v_pk_mul_f32 v[4:5], v[4:5], v[108:109]                    // 00000000FDD8: D3B14004 1802D904
	v_pk_mul_f32 v[6:7], v[6:7], v[110:111]                    // 00000000FDE0: D3B14006 1802DD06
	v_pk_mul_f32 v[4:5], v[4:5], s[60:61]                      // 00000000FDE8: D3B14004 18007904
	v_pk_mul_f32 v[6:7], v[6:7], s[60:61]                      // 00000000FDF0: D3B14006 18007906
	v_exp_f32_e32 v4, v4                                       // 00000000FDF8: 7E084104
	v_exp_f32_e32 v5, v5                                       // 00000000FDFC: 7E0A4105
	v_exp_f32_e32 v6, v6                                       // 00000000FE00: 7E0C4106
	v_exp_f32_e32 v7, v7                                       // 00000000FE04: 7E0E4107
	v_add_f32_e64 v4, v4, 1.0                                  // 00000000FE08: D1010004 0001E504
	v_add_f32_e64 v5, v5, 1.0                                  // 00000000FE10: D1010005 0001E505
	v_add_f32_e64 v6, v6, 1.0                                  // 00000000FE18: D1010006 0001E506
	v_add_f32_e64 v7, v7, 1.0                                  // 00000000FE20: D1010007 0001E507
	v_rcp_f32_e32 v4, v4                                       // 00000000FE28: 7E084504
	v_rcp_f32_e32 v5, v5                                       // 00000000FE2C: 7E0A4505
	v_rcp_f32_e32 v6, v6                                       // 00000000FE30: 7E0C4506
	v_rcp_f32_e32 v7, v7                                       // 00000000FE34: 7E0E4507
	v_mul_f32_e32 v108, v108, v4                               // 00000000FE38: 0AD8096C
	v_mul_f32_e32 v109, v109, v5                               // 00000000FE3C: 0ADA0B6D
	v_mul_f32_e32 v110, v110, v6                               // 00000000FE40: 0ADC0D6E
	v_mul_f32_e32 v111, v111, v7                               // 00000000FE44: 0ADE0F6F
	v_mul_f32_e32 v108, v108, v188                             // 00000000FE48: 0AD9796C
	v_mul_f32_e32 v109, v109, v189                             // 00000000FE4C: 0ADB7B6D
	v_mul_f32_e32 v110, v110, v190                             // 00000000FE50: 0ADD7D6E
	v_mul_f32_e32 v111, v111, v191                             // 00000000FE54: 0ADF7F6F
	v_pk_mul_f32 v[4:5], v[112:113], v[112:113]                // 00000000FE58: D3B14004 1802E170
	v_pk_mul_f32 v[6:7], v[114:115], v[114:115]                // 00000000FE60: D3B14006 1802E572
	v_pk_fma_f32 v[4:5], v[4:5], s[78:79], v[8:9]              // 00000000FE68: D3B04004 1C209D04
	v_pk_fma_f32 v[6:7], v[6:7], s[78:79], v[8:9]              // 00000000FE70: D3B04006 1C209D06
	v_pk_mul_f32 v[4:5], v[4:5], v[112:113]                    // 00000000FE78: D3B14004 1802E104
	v_pk_mul_f32 v[6:7], v[6:7], v[114:115]                    // 00000000FE80: D3B14006 1802E506
	v_pk_mul_f32 v[4:5], v[4:5], s[60:61]                      // 00000000FE88: D3B14004 18007904
	v_pk_mul_f32 v[6:7], v[6:7], s[60:61]                      // 00000000FE90: D3B14006 18007906
	v_exp_f32_e32 v4, v4                                       // 00000000FE98: 7E084104
	v_exp_f32_e32 v5, v5                                       // 00000000FE9C: 7E0A4105
	v_exp_f32_e32 v6, v6                                       // 00000000FEA0: 7E0C4106
	v_exp_f32_e32 v7, v7                                       // 00000000FEA4: 7E0E4107
	v_add_f32_e64 v4, v4, 1.0                                  // 00000000FEA8: D1010004 0001E504
	v_add_f32_e64 v5, v5, 1.0                                  // 00000000FEB0: D1010005 0001E505
	v_add_f32_e64 v6, v6, 1.0                                  // 00000000FEB8: D1010006 0001E506
	v_add_f32_e64 v7, v7, 1.0                                  // 00000000FEC0: D1010007 0001E507
	v_rcp_f32_e32 v4, v4                                       // 00000000FEC8: 7E084504
	v_rcp_f32_e32 v5, v5                                       // 00000000FECC: 7E0A4505
	v_rcp_f32_e32 v6, v6                                       // 00000000FED0: 7E0C4506
	v_rcp_f32_e32 v7, v7                                       // 00000000FED4: 7E0E4507
	v_mul_f32_e32 v112, v112, v4                               // 00000000FED8: 0AE00970
	v_mul_f32_e32 v113, v113, v5                               // 00000000FEDC: 0AE20B71
	v_mul_f32_e32 v114, v114, v6                               // 00000000FEE0: 0AE40D72
	v_mul_f32_e32 v115, v115, v7                               // 00000000FEE4: 0AE60F73
	v_mul_f32_e32 v112, v112, v192                             // 00000000FEE8: 0AE18170
	v_mul_f32_e32 v113, v113, v193                             // 00000000FEEC: 0AE38371
	v_mul_f32_e32 v114, v114, v194                             // 00000000FEF0: 0AE58572
	v_mul_f32_e32 v115, v115, v195                             // 00000000FEF4: 0AE78773
	v_pk_mul_f32 v[4:5], v[116:117], v[116:117]                // 00000000FEF8: D3B14004 1802E974
	v_pk_mul_f32 v[6:7], v[118:119], v[118:119]                // 00000000FF00: D3B14006 1802ED76
	v_pk_fma_f32 v[4:5], v[4:5], s[78:79], v[8:9]              // 00000000FF08: D3B04004 1C209D04
	v_pk_fma_f32 v[6:7], v[6:7], s[78:79], v[8:9]              // 00000000FF10: D3B04006 1C209D06
	v_pk_mul_f32 v[4:5], v[4:5], v[116:117]                    // 00000000FF18: D3B14004 1802E904
	v_pk_mul_f32 v[6:7], v[6:7], v[118:119]                    // 00000000FF20: D3B14006 1802ED06
	v_pk_mul_f32 v[4:5], v[4:5], s[60:61]                      // 00000000FF28: D3B14004 18007904
	v_pk_mul_f32 v[6:7], v[6:7], s[60:61]                      // 00000000FF30: D3B14006 18007906
	v_exp_f32_e32 v4, v4                                       // 00000000FF38: 7E084104
	v_exp_f32_e32 v5, v5                                       // 00000000FF3C: 7E0A4105
	v_exp_f32_e32 v6, v6                                       // 00000000FF40: 7E0C4106
	v_exp_f32_e32 v7, v7                                       // 00000000FF44: 7E0E4107
	v_add_f32_e64 v4, v4, 1.0                                  // 00000000FF48: D1010004 0001E504
	v_add_f32_e64 v5, v5, 1.0                                  // 00000000FF50: D1010005 0001E505
	v_add_f32_e64 v6, v6, 1.0                                  // 00000000FF58: D1010006 0001E506
	v_add_f32_e64 v7, v7, 1.0                                  // 00000000FF60: D1010007 0001E507
	v_rcp_f32_e32 v4, v4                                       // 00000000FF68: 7E084504
	v_rcp_f32_e32 v5, v5                                       // 00000000FF6C: 7E0A4505
	v_rcp_f32_e32 v6, v6                                       // 00000000FF70: 7E0C4506
	v_rcp_f32_e32 v7, v7                                       // 00000000FF74: 7E0E4507
	v_mul_f32_e32 v116, v116, v4                               // 00000000FF78: 0AE80974
	v_mul_f32_e32 v117, v117, v5                               // 00000000FF7C: 0AEA0B75
	v_mul_f32_e32 v118, v118, v6                               // 00000000FF80: 0AEC0D76
	v_mul_f32_e32 v119, v119, v7                               // 00000000FF84: 0AEE0F77
	v_mul_f32_e32 v116, v116, v196                             // 00000000FF88: 0AE98974
	v_mul_f32_e32 v117, v117, v197                             // 00000000FF8C: 0AEB8B75
	v_mul_f32_e32 v118, v118, v198                             // 00000000FF90: 0AED8D76
	v_mul_f32_e32 v119, v119, v199                             // 00000000FF94: 0AEF8F77
	v_pk_mul_f32 v[4:5], v[120:121], v[120:121]                // 00000000FF98: D3B14004 1802F178
	v_pk_mul_f32 v[6:7], v[122:123], v[122:123]                // 00000000FFA0: D3B14006 1802F57A
	v_pk_fma_f32 v[4:5], v[4:5], s[78:79], v[8:9]              // 00000000FFA8: D3B04004 1C209D04
	v_pk_fma_f32 v[6:7], v[6:7], s[78:79], v[8:9]              // 00000000FFB0: D3B04006 1C209D06
	v_pk_mul_f32 v[4:5], v[4:5], v[120:121]                    // 00000000FFB8: D3B14004 1802F104
	v_pk_mul_f32 v[6:7], v[6:7], v[122:123]                    // 00000000FFC0: D3B14006 1802F506
	v_pk_mul_f32 v[4:5], v[4:5], s[60:61]                      // 00000000FFC8: D3B14004 18007904
	v_pk_mul_f32 v[6:7], v[6:7], s[60:61]                      // 00000000FFD0: D3B14006 18007906
	v_exp_f32_e32 v4, v4                                       // 00000000FFD8: 7E084104
	v_exp_f32_e32 v5, v5                                       // 00000000FFDC: 7E0A4105
	v_exp_f32_e32 v6, v6                                       // 00000000FFE0: 7E0C4106
	v_exp_f32_e32 v7, v7                                       // 00000000FFE4: 7E0E4107
	v_add_f32_e64 v4, v4, 1.0                                  // 00000000FFE8: D1010004 0001E504
	v_add_f32_e64 v5, v5, 1.0                                  // 00000000FFF0: D1010005 0001E505
	v_add_f32_e64 v6, v6, 1.0                                  // 00000000FFF8: D1010006 0001E506
	v_add_f32_e64 v7, v7, 1.0                                  // 000000010000: D1010007 0001E507
	v_rcp_f32_e32 v4, v4                                       // 000000010008: 7E084504
	v_rcp_f32_e32 v5, v5                                       // 00000001000C: 7E0A4505
	v_rcp_f32_e32 v6, v6                                       // 000000010010: 7E0C4506
	v_rcp_f32_e32 v7, v7                                       // 000000010014: 7E0E4507
	v_mul_f32_e32 v120, v120, v4                               // 000000010018: 0AF00978
	v_mul_f32_e32 v121, v121, v5                               // 00000001001C: 0AF20B79
	v_mul_f32_e32 v122, v122, v6                               // 000000010020: 0AF40D7A
	v_mul_f32_e32 v123, v123, v7                               // 000000010024: 0AF60F7B
	v_mul_f32_e32 v120, v120, v200                             // 000000010028: 0AF19178
	v_mul_f32_e32 v121, v121, v201                             // 00000001002C: 0AF39379
	v_mul_f32_e32 v122, v122, v202                             // 000000010030: 0AF5957A
	v_mul_f32_e32 v123, v123, v203                             // 000000010034: 0AF7977B
	v_pk_mul_f32 v[4:5], v[124:125], v[124:125]                // 000000010038: D3B14004 1802F97C
	v_pk_mul_f32 v[6:7], v[126:127], v[126:127]                // 000000010040: D3B14006 1802FD7E
	v_pk_fma_f32 v[4:5], v[4:5], s[78:79], v[8:9]              // 000000010048: D3B04004 1C209D04
	v_pk_fma_f32 v[6:7], v[6:7], s[78:79], v[8:9]              // 000000010050: D3B04006 1C209D06
	v_pk_mul_f32 v[4:5], v[4:5], v[124:125]                    // 000000010058: D3B14004 1802F904
	v_pk_mul_f32 v[6:7], v[6:7], v[126:127]                    // 000000010060: D3B14006 1802FD06
	v_pk_mul_f32 v[4:5], v[4:5], s[60:61]                      // 000000010068: D3B14004 18007904
	v_pk_mul_f32 v[6:7], v[6:7], s[60:61]                      // 000000010070: D3B14006 18007906
	v_exp_f32_e32 v4, v4                                       // 000000010078: 7E084104
	v_exp_f32_e32 v5, v5                                       // 00000001007C: 7E0A4105
	v_exp_f32_e32 v6, v6                                       // 000000010080: 7E0C4106
	v_exp_f32_e32 v7, v7                                       // 000000010084: 7E0E4107
	v_add_f32_e64 v4, v4, 1.0                                  // 000000010088: D1010004 0001E504
	v_add_f32_e64 v5, v5, 1.0                                  // 000000010090: D1010005 0001E505
	v_add_f32_e64 v6, v6, 1.0                                  // 000000010098: D1010006 0001E506
	v_add_f32_e64 v7, v7, 1.0                                  // 0000000100A0: D1010007 0001E507
	v_rcp_f32_e32 v4, v4                                       // 0000000100A8: 7E084504
	v_rcp_f32_e32 v5, v5                                       // 0000000100AC: 7E0A4505
	v_rcp_f32_e32 v6, v6                                       // 0000000100B0: 7E0C4506
	v_rcp_f32_e32 v7, v7                                       // 0000000100B4: 7E0E4507
	v_mul_f32_e32 v124, v124, v4                               // 0000000100B8: 0AF8097C
	v_mul_f32_e32 v125, v125, v5                               // 0000000100BC: 0AFA0B7D
	v_mul_f32_e32 v126, v126, v6                               // 0000000100C0: 0AFC0D7E
	v_mul_f32_e32 v127, v127, v7                               // 0000000100C4: 0AFE0F7F
	v_mul_f32_e32 v124, v124, v204                             // 0000000100C8: 0AF9997C
	v_mul_f32_e32 v125, v125, v205                             // 0000000100CC: 0AFB9B7D
	v_mul_f32_e32 v126, v126, v206                             // 0000000100D0: 0AFD9D7E
	v_mul_f32_e32 v127, v127, v207                             // 0000000100D4: 0AFF9F7F
	v_pk_mul_f32 v[4:5], v[128:129], v[128:129]                // 0000000100D8: D3B14004 18030180
	v_pk_mul_f32 v[6:7], v[130:131], v[130:131]                // 0000000100E0: D3B14006 18030582
	v_pk_fma_f32 v[4:5], v[4:5], s[78:79], v[8:9]              // 0000000100E8: D3B04004 1C209D04
	v_pk_fma_f32 v[6:7], v[6:7], s[78:79], v[8:9]              // 0000000100F0: D3B04006 1C209D06
	v_pk_mul_f32 v[4:5], v[4:5], v[128:129]                    // 0000000100F8: D3B14004 18030104
	v_pk_mul_f32 v[6:7], v[6:7], v[130:131]                    // 000000010100: D3B14006 18030506
	v_pk_mul_f32 v[4:5], v[4:5], s[60:61]                      // 000000010108: D3B14004 18007904
	v_pk_mul_f32 v[6:7], v[6:7], s[60:61]                      // 000000010110: D3B14006 18007906
	v_exp_f32_e32 v4, v4                                       // 000000010118: 7E084104
	v_exp_f32_e32 v5, v5                                       // 00000001011C: 7E0A4105
	v_exp_f32_e32 v6, v6                                       // 000000010120: 7E0C4106
	v_exp_f32_e32 v7, v7                                       // 000000010124: 7E0E4107
	v_add_f32_e64 v4, v4, 1.0                                  // 000000010128: D1010004 0001E504
	v_add_f32_e64 v5, v5, 1.0                                  // 000000010130: D1010005 0001E505
	v_add_f32_e64 v6, v6, 1.0                                  // 000000010138: D1010006 0001E506
	v_add_f32_e64 v7, v7, 1.0                                  // 000000010140: D1010007 0001E507
	v_rcp_f32_e32 v4, v4                                       // 000000010148: 7E084504
	v_rcp_f32_e32 v5, v5                                       // 00000001014C: 7E0A4505
	v_rcp_f32_e32 v6, v6                                       // 000000010150: 7E0C4506
	v_rcp_f32_e32 v7, v7                                       // 000000010154: 7E0E4507
	v_mul_f32_e32 v128, v128, v4                               // 000000010158: 0B000980
	v_mul_f32_e32 v129, v129, v5                               // 00000001015C: 0B020B81
	v_mul_f32_e32 v130, v130, v6                               // 000000010160: 0B040D82
	v_mul_f32_e32 v131, v131, v7                               // 000000010164: 0B060F83
	v_mul_f32_e32 v128, v128, v208                             // 000000010168: 0B01A180
	v_mul_f32_e32 v129, v129, v209                             // 00000001016C: 0B03A381
	v_mul_f32_e32 v130, v130, v210                             // 000000010170: 0B05A582
	v_mul_f32_e32 v131, v131, v211                             // 000000010174: 0B07A783
	v_pk_mul_f32 v[4:5], v[132:133], v[132:133]                // 000000010178: D3B14004 18030984
	v_pk_mul_f32 v[6:7], v[134:135], v[134:135]                // 000000010180: D3B14006 18030D86
	v_pk_fma_f32 v[4:5], v[4:5], s[78:79], v[8:9]              // 000000010188: D3B04004 1C209D04
	v_pk_fma_f32 v[6:7], v[6:7], s[78:79], v[8:9]              // 000000010190: D3B04006 1C209D06
	v_pk_mul_f32 v[4:5], v[4:5], v[132:133]                    // 000000010198: D3B14004 18030904
	v_pk_mul_f32 v[6:7], v[6:7], v[134:135]                    // 0000000101A0: D3B14006 18030D06
	v_pk_mul_f32 v[4:5], v[4:5], s[60:61]                      // 0000000101A8: D3B14004 18007904
	v_pk_mul_f32 v[6:7], v[6:7], s[60:61]                      // 0000000101B0: D3B14006 18007906
	v_exp_f32_e32 v4, v4                                       // 0000000101B8: 7E084104
	v_exp_f32_e32 v5, v5                                       // 0000000101BC: 7E0A4105
	v_exp_f32_e32 v6, v6                                       // 0000000101C0: 7E0C4106
	v_exp_f32_e32 v7, v7                                       // 0000000101C4: 7E0E4107
	v_add_f32_e64 v4, v4, 1.0                                  // 0000000101C8: D1010004 0001E504
	v_add_f32_e64 v5, v5, 1.0                                  // 0000000101D0: D1010005 0001E505
	v_add_f32_e64 v6, v6, 1.0                                  // 0000000101D8: D1010006 0001E506
	v_add_f32_e64 v7, v7, 1.0                                  // 0000000101E0: D1010007 0001E507
	v_rcp_f32_e32 v4, v4                                       // 0000000101E8: 7E084504
	v_rcp_f32_e32 v5, v5                                       // 0000000101EC: 7E0A4505
	v_rcp_f32_e32 v6, v6                                       // 0000000101F0: 7E0C4506
	v_rcp_f32_e32 v7, v7                                       // 0000000101F4: 7E0E4507
	v_mul_f32_e32 v132, v132, v4                               // 0000000101F8: 0B080984
	v_mul_f32_e32 v133, v133, v5                               // 0000000101FC: 0B0A0B85
	v_mul_f32_e32 v134, v134, v6                               // 000000010200: 0B0C0D86
	v_mul_f32_e32 v135, v135, v7                               // 000000010204: 0B0E0F87
	v_mul_f32_e32 v132, v132, v212                             // 000000010208: 0B09A984
	v_mul_f32_e32 v133, v133, v213                             // 00000001020C: 0B0BAB85
	v_mul_f32_e32 v134, v134, v214                             // 000000010210: 0B0DAD86
	v_mul_f32_e32 v135, v135, v215                             // 000000010214: 0B0FAF87
	v_pk_mul_f32 v[4:5], v[136:137], v[136:137]                // 000000010218: D3B14004 18031188
	v_pk_mul_f32 v[6:7], v[138:139], v[138:139]                // 000000010220: D3B14006 1803158A
	v_pk_fma_f32 v[4:5], v[4:5], s[78:79], v[8:9]              // 000000010228: D3B04004 1C209D04
	v_pk_fma_f32 v[6:7], v[6:7], s[78:79], v[8:9]              // 000000010230: D3B04006 1C209D06
	v_pk_mul_f32 v[4:5], v[4:5], v[136:137]                    // 000000010238: D3B14004 18031104
	v_pk_mul_f32 v[6:7], v[6:7], v[138:139]                    // 000000010240: D3B14006 18031506
	v_pk_mul_f32 v[4:5], v[4:5], s[60:61]                      // 000000010248: D3B14004 18007904
	v_pk_mul_f32 v[6:7], v[6:7], s[60:61]                      // 000000010250: D3B14006 18007906
	v_exp_f32_e32 v4, v4                                       // 000000010258: 7E084104
	v_exp_f32_e32 v5, v5                                       // 00000001025C: 7E0A4105
	v_exp_f32_e32 v6, v6                                       // 000000010260: 7E0C4106
	v_exp_f32_e32 v7, v7                                       // 000000010264: 7E0E4107
	v_add_f32_e64 v4, v4, 1.0                                  // 000000010268: D1010004 0001E504
	v_add_f32_e64 v5, v5, 1.0                                  // 000000010270: D1010005 0001E505
	v_add_f32_e64 v6, v6, 1.0                                  // 000000010278: D1010006 0001E506
	v_add_f32_e64 v7, v7, 1.0                                  // 000000010280: D1010007 0001E507
	v_rcp_f32_e32 v4, v4                                       // 000000010288: 7E084504
	v_rcp_f32_e32 v5, v5                                       // 00000001028C: 7E0A4505
	v_rcp_f32_e32 v6, v6                                       // 000000010290: 7E0C4506
	v_rcp_f32_e32 v7, v7                                       // 000000010294: 7E0E4507
	v_mul_f32_e32 v136, v136, v4                               // 000000010298: 0B100988
	v_mul_f32_e32 v137, v137, v5                               // 00000001029C: 0B120B89
	v_mul_f32_e32 v138, v138, v6                               // 0000000102A0: 0B140D8A
	v_mul_f32_e32 v139, v139, v7                               // 0000000102A4: 0B160F8B
	v_mul_f32_e32 v136, v136, v216                             // 0000000102A8: 0B11B188
	v_mul_f32_e32 v137, v137, v217                             // 0000000102AC: 0B13B389
	v_mul_f32_e32 v138, v138, v218                             // 0000000102B0: 0B15B58A
	v_mul_f32_e32 v139, v139, v219                             // 0000000102B4: 0B17B78B
	v_pk_mul_f32 v[4:5], v[140:141], v[140:141]                // 0000000102B8: D3B14004 1803198C
	v_pk_mul_f32 v[6:7], v[142:143], v[142:143]                // 0000000102C0: D3B14006 18031D8E
	v_pk_fma_f32 v[4:5], v[4:5], s[78:79], v[8:9]              // 0000000102C8: D3B04004 1C209D04
	v_pk_fma_f32 v[6:7], v[6:7], s[78:79], v[8:9]              // 0000000102D0: D3B04006 1C209D06
	v_pk_mul_f32 v[4:5], v[4:5], v[140:141]                    // 0000000102D8: D3B14004 18031904
	v_pk_mul_f32 v[6:7], v[6:7], v[142:143]                    // 0000000102E0: D3B14006 18031D06
	v_pk_mul_f32 v[4:5], v[4:5], s[60:61]                      // 0000000102E8: D3B14004 18007904
	v_pk_mul_f32 v[6:7], v[6:7], s[60:61]                      // 0000000102F0: D3B14006 18007906
	v_exp_f32_e32 v4, v4                                       // 0000000102F8: 7E084104
	v_exp_f32_e32 v5, v5                                       // 0000000102FC: 7E0A4105
	v_exp_f32_e32 v6, v6                                       // 000000010300: 7E0C4106
	v_exp_f32_e32 v7, v7                                       // 000000010304: 7E0E4107
	v_add_f32_e64 v4, v4, 1.0                                  // 000000010308: D1010004 0001E504
	v_add_f32_e64 v5, v5, 1.0                                  // 000000010310: D1010005 0001E505
	v_add_f32_e64 v6, v6, 1.0                                  // 000000010318: D1010006 0001E506
	v_add_f32_e64 v7, v7, 1.0                                  // 000000010320: D1010007 0001E507
	v_rcp_f32_e32 v4, v4                                       // 000000010328: 7E084504
	v_rcp_f32_e32 v5, v5                                       // 00000001032C: 7E0A4505
	v_rcp_f32_e32 v6, v6                                       // 000000010330: 7E0C4506
	v_rcp_f32_e32 v7, v7                                       // 000000010334: 7E0E4507
	v_mul_f32_e32 v140, v140, v4                               // 000000010338: 0B18098C
	v_mul_f32_e32 v141, v141, v5                               // 00000001033C: 0B1A0B8D
	v_mul_f32_e32 v142, v142, v6                               // 000000010340: 0B1C0D8E
	v_mul_f32_e32 v143, v143, v7                               // 000000010344: 0B1E0F8F
	v_mul_f32_e32 v140, v140, v220                             // 000000010348: 0B19B98C
	v_mul_f32_e32 v141, v141, v221                             // 00000001034C: 0B1BBB8D
	v_mul_f32_e32 v142, v142, v222                             // 000000010350: 0B1DBD8E
	v_mul_f32_e32 v143, v143, v223                             // 000000010354: 0B1FBF8F
	v_pk_mul_f32 v[4:5], v[144:145], v[144:145]                // 000000010358: D3B14004 18032190
	v_pk_mul_f32 v[6:7], v[146:147], v[146:147]                // 000000010360: D3B14006 18032592
	v_pk_fma_f32 v[4:5], v[4:5], s[78:79], v[8:9]              // 000000010368: D3B04004 1C209D04
	v_pk_fma_f32 v[6:7], v[6:7], s[78:79], v[8:9]              // 000000010370: D3B04006 1C209D06
	v_pk_mul_f32 v[4:5], v[4:5], v[144:145]                    // 000000010378: D3B14004 18032104
	v_pk_mul_f32 v[6:7], v[6:7], v[146:147]                    // 000000010380: D3B14006 18032506
	v_pk_mul_f32 v[4:5], v[4:5], s[60:61]                      // 000000010388: D3B14004 18007904
	v_pk_mul_f32 v[6:7], v[6:7], s[60:61]                      // 000000010390: D3B14006 18007906
	v_exp_f32_e32 v4, v4                                       // 000000010398: 7E084104
	v_exp_f32_e32 v5, v5                                       // 00000001039C: 7E0A4105
	v_exp_f32_e32 v6, v6                                       // 0000000103A0: 7E0C4106
	v_exp_f32_e32 v7, v7                                       // 0000000103A4: 7E0E4107
	v_add_f32_e64 v4, v4, 1.0                                  // 0000000103A8: D1010004 0001E504
	v_add_f32_e64 v5, v5, 1.0                                  // 0000000103B0: D1010005 0001E505
	v_add_f32_e64 v6, v6, 1.0                                  // 0000000103B8: D1010006 0001E506
	v_add_f32_e64 v7, v7, 1.0                                  // 0000000103C0: D1010007 0001E507
	v_rcp_f32_e32 v4, v4                                       // 0000000103C8: 7E084504
	v_rcp_f32_e32 v5, v5                                       // 0000000103CC: 7E0A4505
	v_rcp_f32_e32 v6, v6                                       // 0000000103D0: 7E0C4506
	v_rcp_f32_e32 v7, v7                                       // 0000000103D4: 7E0E4507
	v_mul_f32_e32 v144, v144, v4                               // 0000000103D8: 0B200990
	v_mul_f32_e32 v145, v145, v5                               // 0000000103DC: 0B220B91
	v_mul_f32_e32 v146, v146, v6                               // 0000000103E0: 0B240D92
	v_mul_f32_e32 v147, v147, v7                               // 0000000103E4: 0B260F93
	v_mul_f32_e32 v144, v144, v224                             // 0000000103E8: 0B21C190
	v_mul_f32_e32 v145, v145, v225                             // 0000000103EC: 0B23C391
	v_mul_f32_e32 v146, v146, v226                             // 0000000103F0: 0B25C592
	v_mul_f32_e32 v147, v147, v227                             // 0000000103F4: 0B27C793
	v_pk_mul_f32 v[4:5], v[148:149], v[148:149]                // 0000000103F8: D3B14004 18032994
	v_pk_mul_f32 v[6:7], v[150:151], v[150:151]                // 000000010400: D3B14006 18032D96
	v_pk_fma_f32 v[4:5], v[4:5], s[78:79], v[8:9]              // 000000010408: D3B04004 1C209D04
	v_pk_fma_f32 v[6:7], v[6:7], s[78:79], v[8:9]              // 000000010410: D3B04006 1C209D06
	v_pk_mul_f32 v[4:5], v[4:5], v[148:149]                    // 000000010418: D3B14004 18032904
	v_pk_mul_f32 v[6:7], v[6:7], v[150:151]                    // 000000010420: D3B14006 18032D06
	v_pk_mul_f32 v[4:5], v[4:5], s[60:61]                      // 000000010428: D3B14004 18007904
	v_pk_mul_f32 v[6:7], v[6:7], s[60:61]                      // 000000010430: D3B14006 18007906
	v_exp_f32_e32 v4, v4                                       // 000000010438: 7E084104
	v_exp_f32_e32 v5, v5                                       // 00000001043C: 7E0A4105
	v_exp_f32_e32 v6, v6                                       // 000000010440: 7E0C4106
	v_exp_f32_e32 v7, v7                                       // 000000010444: 7E0E4107
	v_add_f32_e64 v4, v4, 1.0                                  // 000000010448: D1010004 0001E504
	v_add_f32_e64 v5, v5, 1.0                                  // 000000010450: D1010005 0001E505
	v_add_f32_e64 v6, v6, 1.0                                  // 000000010458: D1010006 0001E506
	v_add_f32_e64 v7, v7, 1.0                                  // 000000010460: D1010007 0001E507
	v_rcp_f32_e32 v4, v4                                       // 000000010468: 7E084504
	v_rcp_f32_e32 v5, v5                                       // 00000001046C: 7E0A4505
	v_rcp_f32_e32 v6, v6                                       // 000000010470: 7E0C4506
	v_rcp_f32_e32 v7, v7                                       // 000000010474: 7E0E4507
	v_mul_f32_e32 v148, v148, v4                               // 000000010478: 0B280994
	v_mul_f32_e32 v149, v149, v5                               // 00000001047C: 0B2A0B95
	v_mul_f32_e32 v150, v150, v6                               // 000000010480: 0B2C0D96
	v_mul_f32_e32 v151, v151, v7                               // 000000010484: 0B2E0F97
	v_mul_f32_e32 v148, v148, v228                             // 000000010488: 0B29C994
	v_mul_f32_e32 v149, v149, v229                             // 00000001048C: 0B2BCB95
	v_mul_f32_e32 v150, v150, v230                             // 000000010490: 0B2DCD96
	v_mul_f32_e32 v151, v151, v231                             // 000000010494: 0B2FCF97
	v_pk_mul_f32 v[4:5], v[152:153], v[152:153]                // 000000010498: D3B14004 18033198
	v_pk_mul_f32 v[6:7], v[154:155], v[154:155]                // 0000000104A0: D3B14006 1803359A
	v_pk_fma_f32 v[4:5], v[4:5], s[78:79], v[8:9]              // 0000000104A8: D3B04004 1C209D04
	v_pk_fma_f32 v[6:7], v[6:7], s[78:79], v[8:9]              // 0000000104B0: D3B04006 1C209D06
	v_pk_mul_f32 v[4:5], v[4:5], v[152:153]                    // 0000000104B8: D3B14004 18033104
	v_pk_mul_f32 v[6:7], v[6:7], v[154:155]                    // 0000000104C0: D3B14006 18033506
	v_pk_mul_f32 v[4:5], v[4:5], s[60:61]                      // 0000000104C8: D3B14004 18007904
	v_pk_mul_f32 v[6:7], v[6:7], s[60:61]                      // 0000000104D0: D3B14006 18007906
	v_exp_f32_e32 v4, v4                                       // 0000000104D8: 7E084104
	v_exp_f32_e32 v5, v5                                       // 0000000104DC: 7E0A4105
	v_exp_f32_e32 v6, v6                                       // 0000000104E0: 7E0C4106
	v_exp_f32_e32 v7, v7                                       // 0000000104E4: 7E0E4107
	v_add_f32_e64 v4, v4, 1.0                                  // 0000000104E8: D1010004 0001E504
	v_add_f32_e64 v5, v5, 1.0                                  // 0000000104F0: D1010005 0001E505
	v_add_f32_e64 v6, v6, 1.0                                  // 0000000104F8: D1010006 0001E506
	v_add_f32_e64 v7, v7, 1.0                                  // 000000010500: D1010007 0001E507
	v_rcp_f32_e32 v4, v4                                       // 000000010508: 7E084504
	v_rcp_f32_e32 v5, v5                                       // 00000001050C: 7E0A4505
	v_rcp_f32_e32 v6, v6                                       // 000000010510: 7E0C4506
	v_rcp_f32_e32 v7, v7                                       // 000000010514: 7E0E4507
	v_mul_f32_e32 v152, v152, v4                               // 000000010518: 0B300998
	v_mul_f32_e32 v153, v153, v5                               // 00000001051C: 0B320B99
	v_mul_f32_e32 v154, v154, v6                               // 000000010520: 0B340D9A
	v_mul_f32_e32 v155, v155, v7                               // 000000010524: 0B360F9B
	v_mul_f32_e32 v152, v152, v232                             // 000000010528: 0B31D198
	v_mul_f32_e32 v153, v153, v233                             // 00000001052C: 0B33D399
	v_mul_f32_e32 v154, v154, v234                             // 000000010530: 0B35D59A
	v_mul_f32_e32 v155, v155, v235                             // 000000010534: 0B37D79B
	v_pk_mul_f32 v[4:5], v[156:157], v[156:157]                // 000000010538: D3B14004 1803399C
	v_pk_mul_f32 v[6:7], v[158:159], v[158:159]                // 000000010540: D3B14006 18033D9E
	v_pk_fma_f32 v[4:5], v[4:5], s[78:79], v[8:9]              // 000000010548: D3B04004 1C209D04
	v_pk_fma_f32 v[6:7], v[6:7], s[78:79], v[8:9]              // 000000010550: D3B04006 1C209D06
	v_pk_mul_f32 v[4:5], v[4:5], v[156:157]                    // 000000010558: D3B14004 18033904
	v_pk_mul_f32 v[6:7], v[6:7], v[158:159]                    // 000000010560: D3B14006 18033D06
	v_pk_mul_f32 v[4:5], v[4:5], s[60:61]                      // 000000010568: D3B14004 18007904
	v_pk_mul_f32 v[6:7], v[6:7], s[60:61]                      // 000000010570: D3B14006 18007906
	v_exp_f32_e32 v4, v4                                       // 000000010578: 7E084104
	v_exp_f32_e32 v5, v5                                       // 00000001057C: 7E0A4105
	v_exp_f32_e32 v6, v6                                       // 000000010580: 7E0C4106
	v_exp_f32_e32 v7, v7                                       // 000000010584: 7E0E4107
	v_add_f32_e64 v4, v4, 1.0                                  // 000000010588: D1010004 0001E504
	v_add_f32_e64 v5, v5, 1.0                                  // 000000010590: D1010005 0001E505
	v_add_f32_e64 v6, v6, 1.0                                  // 000000010598: D1010006 0001E506
	v_add_f32_e64 v7, v7, 1.0                                  // 0000000105A0: D1010007 0001E507
	v_rcp_f32_e32 v4, v4                                       // 0000000105A8: 7E084504
	v_rcp_f32_e32 v5, v5                                       // 0000000105AC: 7E0A4505
	v_rcp_f32_e32 v6, v6                                       // 0000000105B0: 7E0C4506
	v_rcp_f32_e32 v7, v7                                       // 0000000105B4: 7E0E4507
	v_mul_f32_e32 v156, v156, v4                               // 0000000105B8: 0B38099C
	v_mul_f32_e32 v157, v157, v5                               // 0000000105BC: 0B3A0B9D
	v_mul_f32_e32 v158, v158, v6                               // 0000000105C0: 0B3C0D9E
	v_mul_f32_e32 v159, v159, v7                               // 0000000105C4: 0B3E0F9F
	v_mul_f32_e32 v156, v156, v236                             // 0000000105C8: 0B39D99C
	v_mul_f32_e32 v157, v157, v237                             // 0000000105CC: 0B3BDB9D
	v_mul_f32_e32 v158, v158, v238                             // 0000000105D0: 0B3DDD9E
	v_mul_f32_e32 v159, v159, v239                             // 0000000105D4: 0B3FDF9F
	v_pk_mul_f32 v[4:5], v[160:161], v[160:161]                // 0000000105D8: D3B14004 180341A0
	v_pk_mul_f32 v[6:7], v[162:163], v[162:163]                // 0000000105E0: D3B14006 180345A2
	v_pk_fma_f32 v[4:5], v[4:5], s[78:79], v[8:9]              // 0000000105E8: D3B04004 1C209D04
	v_pk_fma_f32 v[6:7], v[6:7], s[78:79], v[8:9]              // 0000000105F0: D3B04006 1C209D06
	v_pk_mul_f32 v[4:5], v[4:5], v[160:161]                    // 0000000105F8: D3B14004 18034104
	v_pk_mul_f32 v[6:7], v[6:7], v[162:163]                    // 000000010600: D3B14006 18034506
	v_pk_mul_f32 v[4:5], v[4:5], s[60:61]                      // 000000010608: D3B14004 18007904
	v_pk_mul_f32 v[6:7], v[6:7], s[60:61]                      // 000000010610: D3B14006 18007906
	v_exp_f32_e32 v4, v4                                       // 000000010618: 7E084104
	v_exp_f32_e32 v5, v5                                       // 00000001061C: 7E0A4105
	v_exp_f32_e32 v6, v6                                       // 000000010620: 7E0C4106
	v_exp_f32_e32 v7, v7                                       // 000000010624: 7E0E4107
	v_add_f32_e64 v4, v4, 1.0                                  // 000000010628: D1010004 0001E504
	v_add_f32_e64 v5, v5, 1.0                                  // 000000010630: D1010005 0001E505
	v_add_f32_e64 v6, v6, 1.0                                  // 000000010638: D1010006 0001E506
	v_add_f32_e64 v7, v7, 1.0                                  // 000000010640: D1010007 0001E507
	v_rcp_f32_e32 v4, v4                                       // 000000010648: 7E084504
	v_rcp_f32_e32 v5, v5                                       // 00000001064C: 7E0A4505
	v_rcp_f32_e32 v6, v6                                       // 000000010650: 7E0C4506
	v_rcp_f32_e32 v7, v7                                       // 000000010654: 7E0E4507
	v_mul_f32_e32 v160, v160, v4                               // 000000010658: 0B4009A0
	v_mul_f32_e32 v161, v161, v5                               // 00000001065C: 0B420BA1
	v_mul_f32_e32 v162, v162, v6                               // 000000010660: 0B440DA2
	v_mul_f32_e32 v163, v163, v7                               // 000000010664: 0B460FA3
	v_mul_f32_e32 v160, v160, v240                             // 000000010668: 0B41E1A0
	v_mul_f32_e32 v161, v161, v241                             // 00000001066C: 0B43E3A1
	v_mul_f32_e32 v162, v162, v242                             // 000000010670: 0B45E5A2
	v_mul_f32_e32 v163, v163, v243                             // 000000010674: 0B47E7A3
	v_pk_mul_f32 v[4:5], v[164:165], v[164:165]                // 000000010678: D3B14004 180349A4
	v_pk_mul_f32 v[6:7], v[166:167], v[166:167]                // 000000010680: D3B14006 18034DA6
	v_pk_fma_f32 v[4:5], v[4:5], s[78:79], v[8:9]              // 000000010688: D3B04004 1C209D04
	v_pk_fma_f32 v[6:7], v[6:7], s[78:79], v[8:9]              // 000000010690: D3B04006 1C209D06
	v_pk_mul_f32 v[4:5], v[4:5], v[164:165]                    // 000000010698: D3B14004 18034904
	v_pk_mul_f32 v[6:7], v[6:7], v[166:167]                    // 0000000106A0: D3B14006 18034D06
	v_pk_mul_f32 v[4:5], v[4:5], s[60:61]                      // 0000000106A8: D3B14004 18007904
	v_pk_mul_f32 v[6:7], v[6:7], s[60:61]                      // 0000000106B0: D3B14006 18007906
	v_exp_f32_e32 v4, v4                                       // 0000000106B8: 7E084104
	v_exp_f32_e32 v5, v5                                       // 0000000106BC: 7E0A4105
	v_exp_f32_e32 v6, v6                                       // 0000000106C0: 7E0C4106
	v_exp_f32_e32 v7, v7                                       // 0000000106C4: 7E0E4107
	v_add_f32_e64 v4, v4, 1.0                                  // 0000000106C8: D1010004 0001E504
	v_add_f32_e64 v5, v5, 1.0                                  // 0000000106D0: D1010005 0001E505
	v_add_f32_e64 v6, v6, 1.0                                  // 0000000106D8: D1010006 0001E506
	v_add_f32_e64 v7, v7, 1.0                                  // 0000000106E0: D1010007 0001E507
	v_rcp_f32_e32 v4, v4                                       // 0000000106E8: 7E084504
	v_rcp_f32_e32 v5, v5                                       // 0000000106EC: 7E0A4505
	v_rcp_f32_e32 v6, v6                                       // 0000000106F0: 7E0C4506
	v_rcp_f32_e32 v7, v7                                       // 0000000106F4: 7E0E4507
	v_mul_f32_e32 v164, v164, v4                               // 0000000106F8: 0B4809A4
	v_mul_f32_e32 v165, v165, v5                               // 0000000106FC: 0B4A0BA5
	v_mul_f32_e32 v166, v166, v6                               // 000000010700: 0B4C0DA6
	v_mul_f32_e32 v167, v167, v7                               // 000000010704: 0B4E0FA7
	v_mul_f32_e32 v164, v164, v244                             // 000000010708: 0B49E9A4
	v_mul_f32_e32 v165, v165, v245                             // 00000001070C: 0B4BEBA5
	v_mul_f32_e32 v166, v166, v246                             // 000000010710: 0B4DEDA6
	v_mul_f32_e32 v167, v167, v247                             // 000000010714: 0B4FEFA7
	v_pk_mul_f32 v[4:5], v[168:169], v[168:169]                // 000000010718: D3B14004 180351A8
	v_pk_mul_f32 v[6:7], v[170:171], v[170:171]                // 000000010720: D3B14006 180355AA
	v_pk_fma_f32 v[4:5], v[4:5], s[78:79], v[8:9]              // 000000010728: D3B04004 1C209D04
	v_pk_fma_f32 v[6:7], v[6:7], s[78:79], v[8:9]              // 000000010730: D3B04006 1C209D06
	v_pk_mul_f32 v[4:5], v[4:5], v[168:169]                    // 000000010738: D3B14004 18035104
	v_pk_mul_f32 v[6:7], v[6:7], v[170:171]                    // 000000010740: D3B14006 18035506
	v_pk_mul_f32 v[4:5], v[4:5], s[60:61]                      // 000000010748: D3B14004 18007904
	v_pk_mul_f32 v[6:7], v[6:7], s[60:61]                      // 000000010750: D3B14006 18007906
	v_exp_f32_e32 v4, v4                                       // 000000010758: 7E084104
	v_exp_f32_e32 v5, v5                                       // 00000001075C: 7E0A4105
	v_exp_f32_e32 v6, v6                                       // 000000010760: 7E0C4106
	v_exp_f32_e32 v7, v7                                       // 000000010764: 7E0E4107
	v_add_f32_e64 v4, v4, 1.0                                  // 000000010768: D1010004 0001E504
	v_add_f32_e64 v5, v5, 1.0                                  // 000000010770: D1010005 0001E505
	v_add_f32_e64 v6, v6, 1.0                                  // 000000010778: D1010006 0001E506
	v_add_f32_e64 v7, v7, 1.0                                  // 000000010780: D1010007 0001E507
	v_rcp_f32_e32 v4, v4                                       // 000000010788: 7E084504
	v_rcp_f32_e32 v5, v5                                       // 00000001078C: 7E0A4505
	v_rcp_f32_e32 v6, v6                                       // 000000010790: 7E0C4506
	v_rcp_f32_e32 v7, v7                                       // 000000010794: 7E0E4507
	v_mul_f32_e32 v168, v168, v4                               // 000000010798: 0B5009A8
	v_mul_f32_e32 v169, v169, v5                               // 00000001079C: 0B520BA9
	v_mul_f32_e32 v170, v170, v6                               // 0000000107A0: 0B540DAA
	v_mul_f32_e32 v171, v171, v7                               // 0000000107A4: 0B560FAB
	v_mul_f32_e32 v168, v168, v248                             // 0000000107A8: 0B51F1A8
	v_mul_f32_e32 v169, v169, v249                             // 0000000107AC: 0B53F3A9
	v_mul_f32_e32 v170, v170, v250                             // 0000000107B0: 0B55F5AA
	v_mul_f32_e32 v171, v171, v251                             // 0000000107B4: 0B57F7AB
	s_branch label_39F2                                        // 0000000107B8: BF820280

00000000000107bc <label_3772>:
	v_mul_f32_e64 v4, -v92, s6                                 // 0000000107BC: D1050004 20000D5C
	v_mul_f32_e64 v5, -v93, s6                                 // 0000000107C4: D1050005 20000D5D
	v_mul_f32_e64 v6, -v94, s6                                 // 0000000107CC: D1050006 20000D5E
	v_mul_f32_e64 v7, -v95, s6                                 // 0000000107D4: D1050007 20000D5F
	v_exp_f32_e32 v4, v4                                       // 0000000107DC: 7E084104
	v_exp_f32_e32 v5, v5                                       // 0000000107E0: 7E0A4105
	v_exp_f32_e32 v6, v6                                       // 0000000107E4: 7E0C4106
	v_exp_f32_e32 v7, v7                                       // 0000000107E8: 7E0E4107
	v_add_f32_e64 v4, v4, 1.0                                  // 0000000107EC: D1010004 0001E504
	v_add_f32_e64 v5, v5, 1.0                                  // 0000000107F4: D1010005 0001E505
	v_add_f32_e64 v6, v6, 1.0                                  // 0000000107FC: D1010006 0001E506
	v_add_f32_e64 v7, v7, 1.0                                  // 000000010804: D1010007 0001E507
	v_rcp_f32_e32 v4, v4                                       // 00000001080C: 7E084504
	v_rcp_f32_e32 v5, v5                                       // 000000010810: 7E0A4505
	v_rcp_f32_e32 v6, v6                                       // 000000010814: 7E0C4506
	v_rcp_f32_e32 v7, v7                                       // 000000010818: 7E0E4507
	v_mul_f32_e32 v92, v92, v4                                 // 00000001081C: 0AB8095C
	v_mul_f32_e32 v93, v93, v5                                 // 000000010820: 0ABA0B5D
	v_mul_f32_e32 v94, v94, v6                                 // 000000010824: 0ABC0D5E
	v_mul_f32_e32 v95, v95, v7                                 // 000000010828: 0ABE0F5F
	v_mul_f32_e32 v92, v92, v172                               // 00000001082C: 0AB9595C
	v_mul_f32_e32 v93, v93, v173                               // 000000010830: 0ABB5B5D
	v_mul_f32_e32 v94, v94, v174                               // 000000010834: 0ABD5D5E
	v_mul_f32_e32 v95, v95, v175                               // 000000010838: 0ABF5F5F
	v_mul_f32_e64 v4, -v96, s6                                 // 00000001083C: D1050004 20000D60
	v_mul_f32_e64 v5, -v97, s6                                 // 000000010844: D1050005 20000D61
	v_mul_f32_e64 v6, -v98, s6                                 // 00000001084C: D1050006 20000D62
	v_mul_f32_e64 v7, -v99, s6                                 // 000000010854: D1050007 20000D63
	v_exp_f32_e32 v4, v4                                       // 00000001085C: 7E084104
	v_exp_f32_e32 v5, v5                                       // 000000010860: 7E0A4105
	v_exp_f32_e32 v6, v6                                       // 000000010864: 7E0C4106
	v_exp_f32_e32 v7, v7                                       // 000000010868: 7E0E4107
	v_add_f32_e64 v4, v4, 1.0                                  // 00000001086C: D1010004 0001E504
	v_add_f32_e64 v5, v5, 1.0                                  // 000000010874: D1010005 0001E505
	v_add_f32_e64 v6, v6, 1.0                                  // 00000001087C: D1010006 0001E506
	v_add_f32_e64 v7, v7, 1.0                                  // 000000010884: D1010007 0001E507
	v_rcp_f32_e32 v4, v4                                       // 00000001088C: 7E084504
	v_rcp_f32_e32 v5, v5                                       // 000000010890: 7E0A4505
	v_rcp_f32_e32 v6, v6                                       // 000000010894: 7E0C4506
	v_rcp_f32_e32 v7, v7                                       // 000000010898: 7E0E4507
	v_mul_f32_e32 v96, v96, v4                                 // 00000001089C: 0AC00960
	v_mul_f32_e32 v97, v97, v5                                 // 0000000108A0: 0AC20B61
	v_mul_f32_e32 v98, v98, v6                                 // 0000000108A4: 0AC40D62
	v_mul_f32_e32 v99, v99, v7                                 // 0000000108A8: 0AC60F63
	v_mul_f32_e32 v96, v96, v176                               // 0000000108AC: 0AC16160
	v_mul_f32_e32 v97, v97, v177                               // 0000000108B0: 0AC36361
	v_mul_f32_e32 v98, v98, v178                               // 0000000108B4: 0AC56562
	v_mul_f32_e32 v99, v99, v179                               // 0000000108B8: 0AC76763
	v_mul_f32_e64 v4, -v100, s6                                // 0000000108BC: D1050004 20000D64
	v_mul_f32_e64 v5, -v101, s6                                // 0000000108C4: D1050005 20000D65
	v_mul_f32_e64 v6, -v102, s6                                // 0000000108CC: D1050006 20000D66
	v_mul_f32_e64 v7, -v103, s6                                // 0000000108D4: D1050007 20000D67
	v_exp_f32_e32 v4, v4                                       // 0000000108DC: 7E084104
	v_exp_f32_e32 v5, v5                                       // 0000000108E0: 7E0A4105
	v_exp_f32_e32 v6, v6                                       // 0000000108E4: 7E0C4106
	v_exp_f32_e32 v7, v7                                       // 0000000108E8: 7E0E4107
	v_add_f32_e64 v4, v4, 1.0                                  // 0000000108EC: D1010004 0001E504
	v_add_f32_e64 v5, v5, 1.0                                  // 0000000108F4: D1010005 0001E505
	v_add_f32_e64 v6, v6, 1.0                                  // 0000000108FC: D1010006 0001E506
	v_add_f32_e64 v7, v7, 1.0                                  // 000000010904: D1010007 0001E507
	v_rcp_f32_e32 v4, v4                                       // 00000001090C: 7E084504
	v_rcp_f32_e32 v5, v5                                       // 000000010910: 7E0A4505
	v_rcp_f32_e32 v6, v6                                       // 000000010914: 7E0C4506
	v_rcp_f32_e32 v7, v7                                       // 000000010918: 7E0E4507
	v_mul_f32_e32 v100, v100, v4                               // 00000001091C: 0AC80964
	v_mul_f32_e32 v101, v101, v5                               // 000000010920: 0ACA0B65
	v_mul_f32_e32 v102, v102, v6                               // 000000010924: 0ACC0D66
	v_mul_f32_e32 v103, v103, v7                               // 000000010928: 0ACE0F67
	v_mul_f32_e32 v100, v100, v180                             // 00000001092C: 0AC96964
	v_mul_f32_e32 v101, v101, v181                             // 000000010930: 0ACB6B65
	v_mul_f32_e32 v102, v102, v182                             // 000000010934: 0ACD6D66
	v_mul_f32_e32 v103, v103, v183                             // 000000010938: 0ACF6F67
	v_mul_f32_e64 v4, -v104, s6                                // 00000001093C: D1050004 20000D68
	v_mul_f32_e64 v5, -v105, s6                                // 000000010944: D1050005 20000D69
	v_mul_f32_e64 v6, -v106, s6                                // 00000001094C: D1050006 20000D6A
	v_mul_f32_e64 v7, -v107, s6                                // 000000010954: D1050007 20000D6B
	v_exp_f32_e32 v4, v4                                       // 00000001095C: 7E084104
	v_exp_f32_e32 v5, v5                                       // 000000010960: 7E0A4105
	v_exp_f32_e32 v6, v6                                       // 000000010964: 7E0C4106
	v_exp_f32_e32 v7, v7                                       // 000000010968: 7E0E4107
	v_add_f32_e64 v4, v4, 1.0                                  // 00000001096C: D1010004 0001E504
	v_add_f32_e64 v5, v5, 1.0                                  // 000000010974: D1010005 0001E505
	v_add_f32_e64 v6, v6, 1.0                                  // 00000001097C: D1010006 0001E506
	v_add_f32_e64 v7, v7, 1.0                                  // 000000010984: D1010007 0001E507
	v_rcp_f32_e32 v4, v4                                       // 00000001098C: 7E084504
	v_rcp_f32_e32 v5, v5                                       // 000000010990: 7E0A4505
	v_rcp_f32_e32 v6, v6                                       // 000000010994: 7E0C4506
	v_rcp_f32_e32 v7, v7                                       // 000000010998: 7E0E4507
	v_mul_f32_e32 v104, v104, v4                               // 00000001099C: 0AD00968
	v_mul_f32_e32 v105, v105, v5                               // 0000000109A0: 0AD20B69
	v_mul_f32_e32 v106, v106, v6                               // 0000000109A4: 0AD40D6A
	v_mul_f32_e32 v107, v107, v7                               // 0000000109A8: 0AD60F6B
	v_mul_f32_e32 v104, v104, v184                             // 0000000109AC: 0AD17168
	v_mul_f32_e32 v105, v105, v185                             // 0000000109B0: 0AD37369
	v_mul_f32_e32 v106, v106, v186                             // 0000000109B4: 0AD5756A
	v_mul_f32_e32 v107, v107, v187                             // 0000000109B8: 0AD7776B
	v_mul_f32_e64 v4, -v108, s6                                // 0000000109BC: D1050004 20000D6C
	v_mul_f32_e64 v5, -v109, s6                                // 0000000109C4: D1050005 20000D6D
	v_mul_f32_e64 v6, -v110, s6                                // 0000000109CC: D1050006 20000D6E
	v_mul_f32_e64 v7, -v111, s6                                // 0000000109D4: D1050007 20000D6F
	v_exp_f32_e32 v4, v4                                       // 0000000109DC: 7E084104
	v_exp_f32_e32 v5, v5                                       // 0000000109E0: 7E0A4105
	v_exp_f32_e32 v6, v6                                       // 0000000109E4: 7E0C4106
	v_exp_f32_e32 v7, v7                                       // 0000000109E8: 7E0E4107
	v_add_f32_e64 v4, v4, 1.0                                  // 0000000109EC: D1010004 0001E504
	v_add_f32_e64 v5, v5, 1.0                                  // 0000000109F4: D1010005 0001E505
	v_add_f32_e64 v6, v6, 1.0                                  // 0000000109FC: D1010006 0001E506
	v_add_f32_e64 v7, v7, 1.0                                  // 000000010A04: D1010007 0001E507
	v_rcp_f32_e32 v4, v4                                       // 000000010A0C: 7E084504
	v_rcp_f32_e32 v5, v5                                       // 000000010A10: 7E0A4505
	v_rcp_f32_e32 v6, v6                                       // 000000010A14: 7E0C4506
	v_rcp_f32_e32 v7, v7                                       // 000000010A18: 7E0E4507
	v_mul_f32_e32 v108, v108, v4                               // 000000010A1C: 0AD8096C
	v_mul_f32_e32 v109, v109, v5                               // 000000010A20: 0ADA0B6D
	v_mul_f32_e32 v110, v110, v6                               // 000000010A24: 0ADC0D6E
	v_mul_f32_e32 v111, v111, v7                               // 000000010A28: 0ADE0F6F
	v_mul_f32_e32 v108, v108, v188                             // 000000010A2C: 0AD9796C
	v_mul_f32_e32 v109, v109, v189                             // 000000010A30: 0ADB7B6D
	v_mul_f32_e32 v110, v110, v190                             // 000000010A34: 0ADD7D6E
	v_mul_f32_e32 v111, v111, v191                             // 000000010A38: 0ADF7F6F
	v_mul_f32_e64 v4, -v112, s6                                // 000000010A3C: D1050004 20000D70
	v_mul_f32_e64 v5, -v113, s6                                // 000000010A44: D1050005 20000D71
	v_mul_f32_e64 v6, -v114, s6                                // 000000010A4C: D1050006 20000D72
	v_mul_f32_e64 v7, -v115, s6                                // 000000010A54: D1050007 20000D73
	v_exp_f32_e32 v4, v4                                       // 000000010A5C: 7E084104
	v_exp_f32_e32 v5, v5                                       // 000000010A60: 7E0A4105
	v_exp_f32_e32 v6, v6                                       // 000000010A64: 7E0C4106
	v_exp_f32_e32 v7, v7                                       // 000000010A68: 7E0E4107
	v_add_f32_e64 v4, v4, 1.0                                  // 000000010A6C: D1010004 0001E504
	v_add_f32_e64 v5, v5, 1.0                                  // 000000010A74: D1010005 0001E505
	v_add_f32_e64 v6, v6, 1.0                                  // 000000010A7C: D1010006 0001E506
	v_add_f32_e64 v7, v7, 1.0                                  // 000000010A84: D1010007 0001E507
	v_rcp_f32_e32 v4, v4                                       // 000000010A8C: 7E084504
	v_rcp_f32_e32 v5, v5                                       // 000000010A90: 7E0A4505
	v_rcp_f32_e32 v6, v6                                       // 000000010A94: 7E0C4506
	v_rcp_f32_e32 v7, v7                                       // 000000010A98: 7E0E4507
	v_mul_f32_e32 v112, v112, v4                               // 000000010A9C: 0AE00970
	v_mul_f32_e32 v113, v113, v5                               // 000000010AA0: 0AE20B71
	v_mul_f32_e32 v114, v114, v6                               // 000000010AA4: 0AE40D72
	v_mul_f32_e32 v115, v115, v7                               // 000000010AA8: 0AE60F73
	v_mul_f32_e32 v112, v112, v192                             // 000000010AAC: 0AE18170
	v_mul_f32_e32 v113, v113, v193                             // 000000010AB0: 0AE38371
	v_mul_f32_e32 v114, v114, v194                             // 000000010AB4: 0AE58572
	v_mul_f32_e32 v115, v115, v195                             // 000000010AB8: 0AE78773
	v_mul_f32_e64 v4, -v116, s6                                // 000000010ABC: D1050004 20000D74
	v_mul_f32_e64 v5, -v117, s6                                // 000000010AC4: D1050005 20000D75
	v_mul_f32_e64 v6, -v118, s6                                // 000000010ACC: D1050006 20000D76
	v_mul_f32_e64 v7, -v119, s6                                // 000000010AD4: D1050007 20000D77
	v_exp_f32_e32 v4, v4                                       // 000000010ADC: 7E084104
	v_exp_f32_e32 v5, v5                                       // 000000010AE0: 7E0A4105
	v_exp_f32_e32 v6, v6                                       // 000000010AE4: 7E0C4106
	v_exp_f32_e32 v7, v7                                       // 000000010AE8: 7E0E4107
	v_add_f32_e64 v4, v4, 1.0                                  // 000000010AEC: D1010004 0001E504
	v_add_f32_e64 v5, v5, 1.0                                  // 000000010AF4: D1010005 0001E505
	v_add_f32_e64 v6, v6, 1.0                                  // 000000010AFC: D1010006 0001E506
	v_add_f32_e64 v7, v7, 1.0                                  // 000000010B04: D1010007 0001E507
	v_rcp_f32_e32 v4, v4                                       // 000000010B0C: 7E084504
	v_rcp_f32_e32 v5, v5                                       // 000000010B10: 7E0A4505
	v_rcp_f32_e32 v6, v6                                       // 000000010B14: 7E0C4506
	v_rcp_f32_e32 v7, v7                                       // 000000010B18: 7E0E4507
	v_mul_f32_e32 v116, v116, v4                               // 000000010B1C: 0AE80974
	v_mul_f32_e32 v117, v117, v5                               // 000000010B20: 0AEA0B75
	v_mul_f32_e32 v118, v118, v6                               // 000000010B24: 0AEC0D76
	v_mul_f32_e32 v119, v119, v7                               // 000000010B28: 0AEE0F77
	v_mul_f32_e32 v116, v116, v196                             // 000000010B2C: 0AE98974
	v_mul_f32_e32 v117, v117, v197                             // 000000010B30: 0AEB8B75
	v_mul_f32_e32 v118, v118, v198                             // 000000010B34: 0AED8D76
	v_mul_f32_e32 v119, v119, v199                             // 000000010B38: 0AEF8F77
	v_mul_f32_e64 v4, -v120, s6                                // 000000010B3C: D1050004 20000D78
	v_mul_f32_e64 v5, -v121, s6                                // 000000010B44: D1050005 20000D79
	v_mul_f32_e64 v6, -v122, s6                                // 000000010B4C: D1050006 20000D7A
	v_mul_f32_e64 v7, -v123, s6                                // 000000010B54: D1050007 20000D7B
	v_exp_f32_e32 v4, v4                                       // 000000010B5C: 7E084104
	v_exp_f32_e32 v5, v5                                       // 000000010B60: 7E0A4105
	v_exp_f32_e32 v6, v6                                       // 000000010B64: 7E0C4106
	v_exp_f32_e32 v7, v7                                       // 000000010B68: 7E0E4107
	v_add_f32_e64 v4, v4, 1.0                                  // 000000010B6C: D1010004 0001E504
	v_add_f32_e64 v5, v5, 1.0                                  // 000000010B74: D1010005 0001E505
	v_add_f32_e64 v6, v6, 1.0                                  // 000000010B7C: D1010006 0001E506
	v_add_f32_e64 v7, v7, 1.0                                  // 000000010B84: D1010007 0001E507
	v_rcp_f32_e32 v4, v4                                       // 000000010B8C: 7E084504
	v_rcp_f32_e32 v5, v5                                       // 000000010B90: 7E0A4505
	v_rcp_f32_e32 v6, v6                                       // 000000010B94: 7E0C4506
	v_rcp_f32_e32 v7, v7                                       // 000000010B98: 7E0E4507
	v_mul_f32_e32 v120, v120, v4                               // 000000010B9C: 0AF00978
	v_mul_f32_e32 v121, v121, v5                               // 000000010BA0: 0AF20B79
	v_mul_f32_e32 v122, v122, v6                               // 000000010BA4: 0AF40D7A
	v_mul_f32_e32 v123, v123, v7                               // 000000010BA8: 0AF60F7B
	v_mul_f32_e32 v120, v120, v200                             // 000000010BAC: 0AF19178
	v_mul_f32_e32 v121, v121, v201                             // 000000010BB0: 0AF39379
	v_mul_f32_e32 v122, v122, v202                             // 000000010BB4: 0AF5957A
	v_mul_f32_e32 v123, v123, v203                             // 000000010BB8: 0AF7977B
	v_mul_f32_e64 v4, -v124, s6                                // 000000010BBC: D1050004 20000D7C
	v_mul_f32_e64 v5, -v125, s6                                // 000000010BC4: D1050005 20000D7D
	v_mul_f32_e64 v6, -v126, s6                                // 000000010BCC: D1050006 20000D7E
	v_mul_f32_e64 v7, -v127, s6                                // 000000010BD4: D1050007 20000D7F
	v_exp_f32_e32 v4, v4                                       // 000000010BDC: 7E084104
	v_exp_f32_e32 v5, v5                                       // 000000010BE0: 7E0A4105
	v_exp_f32_e32 v6, v6                                       // 000000010BE4: 7E0C4106
	v_exp_f32_e32 v7, v7                                       // 000000010BE8: 7E0E4107
	v_add_f32_e64 v4, v4, 1.0                                  // 000000010BEC: D1010004 0001E504
	v_add_f32_e64 v5, v5, 1.0                                  // 000000010BF4: D1010005 0001E505
	v_add_f32_e64 v6, v6, 1.0                                  // 000000010BFC: D1010006 0001E506
	v_add_f32_e64 v7, v7, 1.0                                  // 000000010C04: D1010007 0001E507
	v_rcp_f32_e32 v4, v4                                       // 000000010C0C: 7E084504
	v_rcp_f32_e32 v5, v5                                       // 000000010C10: 7E0A4505
	v_rcp_f32_e32 v6, v6                                       // 000000010C14: 7E0C4506
	v_rcp_f32_e32 v7, v7                                       // 000000010C18: 7E0E4507
	v_mul_f32_e32 v124, v124, v4                               // 000000010C1C: 0AF8097C
	v_mul_f32_e32 v125, v125, v5                               // 000000010C20: 0AFA0B7D
	v_mul_f32_e32 v126, v126, v6                               // 000000010C24: 0AFC0D7E
	v_mul_f32_e32 v127, v127, v7                               // 000000010C28: 0AFE0F7F
	v_mul_f32_e32 v124, v124, v204                             // 000000010C2C: 0AF9997C
	v_mul_f32_e32 v125, v125, v205                             // 000000010C30: 0AFB9B7D
	v_mul_f32_e32 v126, v126, v206                             // 000000010C34: 0AFD9D7E
	v_mul_f32_e32 v127, v127, v207                             // 000000010C38: 0AFF9F7F
	v_mul_f32_e64 v4, -v128, s6                                // 000000010C3C: D1050004 20000D80
	v_mul_f32_e64 v5, -v129, s6                                // 000000010C44: D1050005 20000D81
	v_mul_f32_e64 v6, -v130, s6                                // 000000010C4C: D1050006 20000D82
	v_mul_f32_e64 v7, -v131, s6                                // 000000010C54: D1050007 20000D83
	v_exp_f32_e32 v4, v4                                       // 000000010C5C: 7E084104
	v_exp_f32_e32 v5, v5                                       // 000000010C60: 7E0A4105
	v_exp_f32_e32 v6, v6                                       // 000000010C64: 7E0C4106
	v_exp_f32_e32 v7, v7                                       // 000000010C68: 7E0E4107
	v_add_f32_e64 v4, v4, 1.0                                  // 000000010C6C: D1010004 0001E504
	v_add_f32_e64 v5, v5, 1.0                                  // 000000010C74: D1010005 0001E505
	v_add_f32_e64 v6, v6, 1.0                                  // 000000010C7C: D1010006 0001E506
	v_add_f32_e64 v7, v7, 1.0                                  // 000000010C84: D1010007 0001E507
	v_rcp_f32_e32 v4, v4                                       // 000000010C8C: 7E084504
	v_rcp_f32_e32 v5, v5                                       // 000000010C90: 7E0A4505
	v_rcp_f32_e32 v6, v6                                       // 000000010C94: 7E0C4506
	v_rcp_f32_e32 v7, v7                                       // 000000010C98: 7E0E4507
	v_mul_f32_e32 v128, v128, v4                               // 000000010C9C: 0B000980
	v_mul_f32_e32 v129, v129, v5                               // 000000010CA0: 0B020B81
	v_mul_f32_e32 v130, v130, v6                               // 000000010CA4: 0B040D82
	v_mul_f32_e32 v131, v131, v7                               // 000000010CA8: 0B060F83
	v_mul_f32_e32 v128, v128, v208                             // 000000010CAC: 0B01A180
	v_mul_f32_e32 v129, v129, v209                             // 000000010CB0: 0B03A381
	v_mul_f32_e32 v130, v130, v210                             // 000000010CB4: 0B05A582
	v_mul_f32_e32 v131, v131, v211                             // 000000010CB8: 0B07A783
	v_mul_f32_e64 v4, -v132, s6                                // 000000010CBC: D1050004 20000D84
	v_mul_f32_e64 v5, -v133, s6                                // 000000010CC4: D1050005 20000D85
	v_mul_f32_e64 v6, -v134, s6                                // 000000010CCC: D1050006 20000D86
	v_mul_f32_e64 v7, -v135, s6                                // 000000010CD4: D1050007 20000D87
	v_exp_f32_e32 v4, v4                                       // 000000010CDC: 7E084104
	v_exp_f32_e32 v5, v5                                       // 000000010CE0: 7E0A4105
	v_exp_f32_e32 v6, v6                                       // 000000010CE4: 7E0C4106
	v_exp_f32_e32 v7, v7                                       // 000000010CE8: 7E0E4107
	v_add_f32_e64 v4, v4, 1.0                                  // 000000010CEC: D1010004 0001E504
	v_add_f32_e64 v5, v5, 1.0                                  // 000000010CF4: D1010005 0001E505
	v_add_f32_e64 v6, v6, 1.0                                  // 000000010CFC: D1010006 0001E506
	v_add_f32_e64 v7, v7, 1.0                                  // 000000010D04: D1010007 0001E507
	v_rcp_f32_e32 v4, v4                                       // 000000010D0C: 7E084504
	v_rcp_f32_e32 v5, v5                                       // 000000010D10: 7E0A4505
	v_rcp_f32_e32 v6, v6                                       // 000000010D14: 7E0C4506
	v_rcp_f32_e32 v7, v7                                       // 000000010D18: 7E0E4507
	v_mul_f32_e32 v132, v132, v4                               // 000000010D1C: 0B080984
	v_mul_f32_e32 v133, v133, v5                               // 000000010D20: 0B0A0B85
	v_mul_f32_e32 v134, v134, v6                               // 000000010D24: 0B0C0D86
	v_mul_f32_e32 v135, v135, v7                               // 000000010D28: 0B0E0F87
	v_mul_f32_e32 v132, v132, v212                             // 000000010D2C: 0B09A984
	v_mul_f32_e32 v133, v133, v213                             // 000000010D30: 0B0BAB85
	v_mul_f32_e32 v134, v134, v214                             // 000000010D34: 0B0DAD86
	v_mul_f32_e32 v135, v135, v215                             // 000000010D38: 0B0FAF87
	v_mul_f32_e64 v4, -v136, s6                                // 000000010D3C: D1050004 20000D88
	v_mul_f32_e64 v5, -v137, s6                                // 000000010D44: D1050005 20000D89
	v_mul_f32_e64 v6, -v138, s6                                // 000000010D4C: D1050006 20000D8A
	v_mul_f32_e64 v7, -v139, s6                                // 000000010D54: D1050007 20000D8B
	v_exp_f32_e32 v4, v4                                       // 000000010D5C: 7E084104
	v_exp_f32_e32 v5, v5                                       // 000000010D60: 7E0A4105
	v_exp_f32_e32 v6, v6                                       // 000000010D64: 7E0C4106
	v_exp_f32_e32 v7, v7                                       // 000000010D68: 7E0E4107
	v_add_f32_e64 v4, v4, 1.0                                  // 000000010D6C: D1010004 0001E504
	v_add_f32_e64 v5, v5, 1.0                                  // 000000010D74: D1010005 0001E505
	v_add_f32_e64 v6, v6, 1.0                                  // 000000010D7C: D1010006 0001E506
	v_add_f32_e64 v7, v7, 1.0                                  // 000000010D84: D1010007 0001E507
	v_rcp_f32_e32 v4, v4                                       // 000000010D8C: 7E084504
	v_rcp_f32_e32 v5, v5                                       // 000000010D90: 7E0A4505
	v_rcp_f32_e32 v6, v6                                       // 000000010D94: 7E0C4506
	v_rcp_f32_e32 v7, v7                                       // 000000010D98: 7E0E4507
	v_mul_f32_e32 v136, v136, v4                               // 000000010D9C: 0B100988
	v_mul_f32_e32 v137, v137, v5                               // 000000010DA0: 0B120B89
	v_mul_f32_e32 v138, v138, v6                               // 000000010DA4: 0B140D8A
	v_mul_f32_e32 v139, v139, v7                               // 000000010DA8: 0B160F8B
	v_mul_f32_e32 v136, v136, v216                             // 000000010DAC: 0B11B188
	v_mul_f32_e32 v137, v137, v217                             // 000000010DB0: 0B13B389
	v_mul_f32_e32 v138, v138, v218                             // 000000010DB4: 0B15B58A
	v_mul_f32_e32 v139, v139, v219                             // 000000010DB8: 0B17B78B
	v_mul_f32_e64 v4, -v140, s6                                // 000000010DBC: D1050004 20000D8C
	v_mul_f32_e64 v5, -v141, s6                                // 000000010DC4: D1050005 20000D8D
	v_mul_f32_e64 v6, -v142, s6                                // 000000010DCC: D1050006 20000D8E
	v_mul_f32_e64 v7, -v143, s6                                // 000000010DD4: D1050007 20000D8F
	v_exp_f32_e32 v4, v4                                       // 000000010DDC: 7E084104
	v_exp_f32_e32 v5, v5                                       // 000000010DE0: 7E0A4105
	v_exp_f32_e32 v6, v6                                       // 000000010DE4: 7E0C4106
	v_exp_f32_e32 v7, v7                                       // 000000010DE8: 7E0E4107
	v_add_f32_e64 v4, v4, 1.0                                  // 000000010DEC: D1010004 0001E504
	v_add_f32_e64 v5, v5, 1.0                                  // 000000010DF4: D1010005 0001E505
	v_add_f32_e64 v6, v6, 1.0                                  // 000000010DFC: D1010006 0001E506
	v_add_f32_e64 v7, v7, 1.0                                  // 000000010E04: D1010007 0001E507
	v_rcp_f32_e32 v4, v4                                       // 000000010E0C: 7E084504
	v_rcp_f32_e32 v5, v5                                       // 000000010E10: 7E0A4505
	v_rcp_f32_e32 v6, v6                                       // 000000010E14: 7E0C4506
	v_rcp_f32_e32 v7, v7                                       // 000000010E18: 7E0E4507
	v_mul_f32_e32 v140, v140, v4                               // 000000010E1C: 0B18098C
	v_mul_f32_e32 v141, v141, v5                               // 000000010E20: 0B1A0B8D
	v_mul_f32_e32 v142, v142, v6                               // 000000010E24: 0B1C0D8E
	v_mul_f32_e32 v143, v143, v7                               // 000000010E28: 0B1E0F8F
	v_mul_f32_e32 v140, v140, v220                             // 000000010E2C: 0B19B98C
	v_mul_f32_e32 v141, v141, v221                             // 000000010E30: 0B1BBB8D
	v_mul_f32_e32 v142, v142, v222                             // 000000010E34: 0B1DBD8E
	v_mul_f32_e32 v143, v143, v223                             // 000000010E38: 0B1FBF8F
	v_mul_f32_e64 v4, -v144, s6                                // 000000010E3C: D1050004 20000D90
	v_mul_f32_e64 v5, -v145, s6                                // 000000010E44: D1050005 20000D91
	v_mul_f32_e64 v6, -v146, s6                                // 000000010E4C: D1050006 20000D92
	v_mul_f32_e64 v7, -v147, s6                                // 000000010E54: D1050007 20000D93
	v_exp_f32_e32 v4, v4                                       // 000000010E5C: 7E084104
	v_exp_f32_e32 v5, v5                                       // 000000010E60: 7E0A4105
	v_exp_f32_e32 v6, v6                                       // 000000010E64: 7E0C4106
	v_exp_f32_e32 v7, v7                                       // 000000010E68: 7E0E4107
	v_add_f32_e64 v4, v4, 1.0                                  // 000000010E6C: D1010004 0001E504
	v_add_f32_e64 v5, v5, 1.0                                  // 000000010E74: D1010005 0001E505
	v_add_f32_e64 v6, v6, 1.0                                  // 000000010E7C: D1010006 0001E506
	v_add_f32_e64 v7, v7, 1.0                                  // 000000010E84: D1010007 0001E507
	v_rcp_f32_e32 v4, v4                                       // 000000010E8C: 7E084504
	v_rcp_f32_e32 v5, v5                                       // 000000010E90: 7E0A4505
	v_rcp_f32_e32 v6, v6                                       // 000000010E94: 7E0C4506
	v_rcp_f32_e32 v7, v7                                       // 000000010E98: 7E0E4507
	v_mul_f32_e32 v144, v144, v4                               // 000000010E9C: 0B200990
	v_mul_f32_e32 v145, v145, v5                               // 000000010EA0: 0B220B91
	v_mul_f32_e32 v146, v146, v6                               // 000000010EA4: 0B240D92
	v_mul_f32_e32 v147, v147, v7                               // 000000010EA8: 0B260F93
	v_mul_f32_e32 v144, v144, v224                             // 000000010EAC: 0B21C190
	v_mul_f32_e32 v145, v145, v225                             // 000000010EB0: 0B23C391
	v_mul_f32_e32 v146, v146, v226                             // 000000010EB4: 0B25C592
	v_mul_f32_e32 v147, v147, v227                             // 000000010EB8: 0B27C793
	v_mul_f32_e64 v4, -v148, s6                                // 000000010EBC: D1050004 20000D94
	v_mul_f32_e64 v5, -v149, s6                                // 000000010EC4: D1050005 20000D95
	v_mul_f32_e64 v6, -v150, s6                                // 000000010ECC: D1050006 20000D96
	v_mul_f32_e64 v7, -v151, s6                                // 000000010ED4: D1050007 20000D97
	v_exp_f32_e32 v4, v4                                       // 000000010EDC: 7E084104
	v_exp_f32_e32 v5, v5                                       // 000000010EE0: 7E0A4105
	v_exp_f32_e32 v6, v6                                       // 000000010EE4: 7E0C4106
	v_exp_f32_e32 v7, v7                                       // 000000010EE8: 7E0E4107
	v_add_f32_e64 v4, v4, 1.0                                  // 000000010EEC: D1010004 0001E504
	v_add_f32_e64 v5, v5, 1.0                                  // 000000010EF4: D1010005 0001E505
	v_add_f32_e64 v6, v6, 1.0                                  // 000000010EFC: D1010006 0001E506
	v_add_f32_e64 v7, v7, 1.0                                  // 000000010F04: D1010007 0001E507
	v_rcp_f32_e32 v4, v4                                       // 000000010F0C: 7E084504
	v_rcp_f32_e32 v5, v5                                       // 000000010F10: 7E0A4505
	v_rcp_f32_e32 v6, v6                                       // 000000010F14: 7E0C4506
	v_rcp_f32_e32 v7, v7                                       // 000000010F18: 7E0E4507
	v_mul_f32_e32 v148, v148, v4                               // 000000010F1C: 0B280994
	v_mul_f32_e32 v149, v149, v5                               // 000000010F20: 0B2A0B95
	v_mul_f32_e32 v150, v150, v6                               // 000000010F24: 0B2C0D96
	v_mul_f32_e32 v151, v151, v7                               // 000000010F28: 0B2E0F97
	v_mul_f32_e32 v148, v148, v228                             // 000000010F2C: 0B29C994
	v_mul_f32_e32 v149, v149, v229                             // 000000010F30: 0B2BCB95
	v_mul_f32_e32 v150, v150, v230                             // 000000010F34: 0B2DCD96
	v_mul_f32_e32 v151, v151, v231                             // 000000010F38: 0B2FCF97
	v_mul_f32_e64 v4, -v152, s6                                // 000000010F3C: D1050004 20000D98
	v_mul_f32_e64 v5, -v153, s6                                // 000000010F44: D1050005 20000D99
	v_mul_f32_e64 v6, -v154, s6                                // 000000010F4C: D1050006 20000D9A
	v_mul_f32_e64 v7, -v155, s6                                // 000000010F54: D1050007 20000D9B
	v_exp_f32_e32 v4, v4                                       // 000000010F5C: 7E084104
	v_exp_f32_e32 v5, v5                                       // 000000010F60: 7E0A4105
	v_exp_f32_e32 v6, v6                                       // 000000010F64: 7E0C4106
	v_exp_f32_e32 v7, v7                                       // 000000010F68: 7E0E4107
	v_add_f32_e64 v4, v4, 1.0                                  // 000000010F6C: D1010004 0001E504
	v_add_f32_e64 v5, v5, 1.0                                  // 000000010F74: D1010005 0001E505
	v_add_f32_e64 v6, v6, 1.0                                  // 000000010F7C: D1010006 0001E506
	v_add_f32_e64 v7, v7, 1.0                                  // 000000010F84: D1010007 0001E507
	v_rcp_f32_e32 v4, v4                                       // 000000010F8C: 7E084504
	v_rcp_f32_e32 v5, v5                                       // 000000010F90: 7E0A4505
	v_rcp_f32_e32 v6, v6                                       // 000000010F94: 7E0C4506
	v_rcp_f32_e32 v7, v7                                       // 000000010F98: 7E0E4507
	v_mul_f32_e32 v152, v152, v4                               // 000000010F9C: 0B300998
	v_mul_f32_e32 v153, v153, v5                               // 000000010FA0: 0B320B99
	v_mul_f32_e32 v154, v154, v6                               // 000000010FA4: 0B340D9A
	v_mul_f32_e32 v155, v155, v7                               // 000000010FA8: 0B360F9B
	v_mul_f32_e32 v152, v152, v232                             // 000000010FAC: 0B31D198
	v_mul_f32_e32 v153, v153, v233                             // 000000010FB0: 0B33D399
	v_mul_f32_e32 v154, v154, v234                             // 000000010FB4: 0B35D59A
	v_mul_f32_e32 v155, v155, v235                             // 000000010FB8: 0B37D79B
	v_mul_f32_e64 v4, -v156, s6                                // 000000010FBC: D1050004 20000D9C
	v_mul_f32_e64 v5, -v157, s6                                // 000000010FC4: D1050005 20000D9D
	v_mul_f32_e64 v6, -v158, s6                                // 000000010FCC: D1050006 20000D9E
	v_mul_f32_e64 v7, -v159, s6                                // 000000010FD4: D1050007 20000D9F
	v_exp_f32_e32 v4, v4                                       // 000000010FDC: 7E084104
	v_exp_f32_e32 v5, v5                                       // 000000010FE0: 7E0A4105
	v_exp_f32_e32 v6, v6                                       // 000000010FE4: 7E0C4106
	v_exp_f32_e32 v7, v7                                       // 000000010FE8: 7E0E4107
	v_add_f32_e64 v4, v4, 1.0                                  // 000000010FEC: D1010004 0001E504
	v_add_f32_e64 v5, v5, 1.0                                  // 000000010FF4: D1010005 0001E505
	v_add_f32_e64 v6, v6, 1.0                                  // 000000010FFC: D1010006 0001E506
	v_add_f32_e64 v7, v7, 1.0                                  // 000000011004: D1010007 0001E507
	v_rcp_f32_e32 v4, v4                                       // 00000001100C: 7E084504
	v_rcp_f32_e32 v5, v5                                       // 000000011010: 7E0A4505
	v_rcp_f32_e32 v6, v6                                       // 000000011014: 7E0C4506
	v_rcp_f32_e32 v7, v7                                       // 000000011018: 7E0E4507
	v_mul_f32_e32 v156, v156, v4                               // 00000001101C: 0B38099C
	v_mul_f32_e32 v157, v157, v5                               // 000000011020: 0B3A0B9D
	v_mul_f32_e32 v158, v158, v6                               // 000000011024: 0B3C0D9E
	v_mul_f32_e32 v159, v159, v7                               // 000000011028: 0B3E0F9F
	v_mul_f32_e32 v156, v156, v236                             // 00000001102C: 0B39D99C
	v_mul_f32_e32 v157, v157, v237                             // 000000011030: 0B3BDB9D
	v_mul_f32_e32 v158, v158, v238                             // 000000011034: 0B3DDD9E
	v_mul_f32_e32 v159, v159, v239                             // 000000011038: 0B3FDF9F
	v_mul_f32_e64 v4, -v160, s6                                // 00000001103C: D1050004 20000DA0
	v_mul_f32_e64 v5, -v161, s6                                // 000000011044: D1050005 20000DA1
	v_mul_f32_e64 v6, -v162, s6                                // 00000001104C: D1050006 20000DA2
	v_mul_f32_e64 v7, -v163, s6                                // 000000011054: D1050007 20000DA3
	v_exp_f32_e32 v4, v4                                       // 00000001105C: 7E084104
	v_exp_f32_e32 v5, v5                                       // 000000011060: 7E0A4105
	v_exp_f32_e32 v6, v6                                       // 000000011064: 7E0C4106
	v_exp_f32_e32 v7, v7                                       // 000000011068: 7E0E4107
	v_add_f32_e64 v4, v4, 1.0                                  // 00000001106C: D1010004 0001E504
	v_add_f32_e64 v5, v5, 1.0                                  // 000000011074: D1010005 0001E505
	v_add_f32_e64 v6, v6, 1.0                                  // 00000001107C: D1010006 0001E506
	v_add_f32_e64 v7, v7, 1.0                                  // 000000011084: D1010007 0001E507
	v_rcp_f32_e32 v4, v4                                       // 00000001108C: 7E084504
	v_rcp_f32_e32 v5, v5                                       // 000000011090: 7E0A4505
	v_rcp_f32_e32 v6, v6                                       // 000000011094: 7E0C4506
	v_rcp_f32_e32 v7, v7                                       // 000000011098: 7E0E4507
	v_mul_f32_e32 v160, v160, v4                               // 00000001109C: 0B4009A0
	v_mul_f32_e32 v161, v161, v5                               // 0000000110A0: 0B420BA1
	v_mul_f32_e32 v162, v162, v6                               // 0000000110A4: 0B440DA2
	v_mul_f32_e32 v163, v163, v7                               // 0000000110A8: 0B460FA3
	v_mul_f32_e32 v160, v160, v240                             // 0000000110AC: 0B41E1A0
	v_mul_f32_e32 v161, v161, v241                             // 0000000110B0: 0B43E3A1
	v_mul_f32_e32 v162, v162, v242                             // 0000000110B4: 0B45E5A2
	v_mul_f32_e32 v163, v163, v243                             // 0000000110B8: 0B47E7A3
	v_mul_f32_e64 v4, -v164, s6                                // 0000000110BC: D1050004 20000DA4
	v_mul_f32_e64 v5, -v165, s6                                // 0000000110C4: D1050005 20000DA5
	v_mul_f32_e64 v6, -v166, s6                                // 0000000110CC: D1050006 20000DA6
	v_mul_f32_e64 v7, -v167, s6                                // 0000000110D4: D1050007 20000DA7
	v_exp_f32_e32 v4, v4                                       // 0000000110DC: 7E084104
	v_exp_f32_e32 v5, v5                                       // 0000000110E0: 7E0A4105
	v_exp_f32_e32 v6, v6                                       // 0000000110E4: 7E0C4106
	v_exp_f32_e32 v7, v7                                       // 0000000110E8: 7E0E4107
	v_add_f32_e64 v4, v4, 1.0                                  // 0000000110EC: D1010004 0001E504
	v_add_f32_e64 v5, v5, 1.0                                  // 0000000110F4: D1010005 0001E505
	v_add_f32_e64 v6, v6, 1.0                                  // 0000000110FC: D1010006 0001E506
	v_add_f32_e64 v7, v7, 1.0                                  // 000000011104: D1010007 0001E507
	v_rcp_f32_e32 v4, v4                                       // 00000001110C: 7E084504
	v_rcp_f32_e32 v5, v5                                       // 000000011110: 7E0A4505
	v_rcp_f32_e32 v6, v6                                       // 000000011114: 7E0C4506
	v_rcp_f32_e32 v7, v7                                       // 000000011118: 7E0E4507
	v_mul_f32_e32 v164, v164, v4                               // 00000001111C: 0B4809A4
	v_mul_f32_e32 v165, v165, v5                               // 000000011120: 0B4A0BA5
	v_mul_f32_e32 v166, v166, v6                               // 000000011124: 0B4C0DA6
	v_mul_f32_e32 v167, v167, v7                               // 000000011128: 0B4E0FA7
	v_mul_f32_e32 v164, v164, v244                             // 00000001112C: 0B49E9A4
	v_mul_f32_e32 v165, v165, v245                             // 000000011130: 0B4BEBA5
	v_mul_f32_e32 v166, v166, v246                             // 000000011134: 0B4DEDA6
	v_mul_f32_e32 v167, v167, v247                             // 000000011138: 0B4FEFA7
	v_mul_f32_e64 v4, -v168, s6                                // 00000001113C: D1050004 20000DA8
	v_mul_f32_e64 v5, -v169, s6                                // 000000011144: D1050005 20000DA9
	v_mul_f32_e64 v6, -v170, s6                                // 00000001114C: D1050006 20000DAA
	v_mul_f32_e64 v7, -v171, s6                                // 000000011154: D1050007 20000DAB
	v_exp_f32_e32 v4, v4                                       // 00000001115C: 7E084104
	v_exp_f32_e32 v5, v5                                       // 000000011160: 7E0A4105
	v_exp_f32_e32 v6, v6                                       // 000000011164: 7E0C4106
	v_exp_f32_e32 v7, v7                                       // 000000011168: 7E0E4107
	v_add_f32_e64 v4, v4, 1.0                                  // 00000001116C: D1010004 0001E504
	v_add_f32_e64 v5, v5, 1.0                                  // 000000011174: D1010005 0001E505
	v_add_f32_e64 v6, v6, 1.0                                  // 00000001117C: D1010006 0001E506
	v_add_f32_e64 v7, v7, 1.0                                  // 000000011184: D1010007 0001E507
	v_rcp_f32_e32 v4, v4                                       // 00000001118C: 7E084504
	v_rcp_f32_e32 v5, v5                                       // 000000011190: 7E0A4505
	v_rcp_f32_e32 v6, v6                                       // 000000011194: 7E0C4506
	v_rcp_f32_e32 v7, v7                                       // 000000011198: 7E0E4507
	v_mul_f32_e32 v168, v168, v4                               // 00000001119C: 0B5009A8
	v_mul_f32_e32 v169, v169, v5                               // 0000000111A0: 0B520BA9
	v_mul_f32_e32 v170, v170, v6                               // 0000000111A4: 0B540DAA
	v_mul_f32_e32 v171, v171, v7                               // 0000000111A8: 0B560FAB
	v_mul_f32_e32 v168, v168, v248                             // 0000000111AC: 0B51F1A8
	v_mul_f32_e32 v169, v169, v249                             // 0000000111B0: 0B53F3A9
	v_mul_f32_e32 v170, v170, v250                             // 0000000111B4: 0B55F5AA
	v_mul_f32_e32 v171, v171, v251                             // 0000000111B8: 0B57F7AB

00000000000111bc <label_39F2>:
	v_cmp_u_f32_e64 s[46:47], v92, v92                         // 0000000111BC: D048002E 0002B95C
	v_add3_u32 v16, v92, v19, 1                                // 0000000111C4: D1FF0010 0206275C
	v_cndmask_b32_e64 v4, v16, v18, s[46:47]                   // 0000000111CC: D1000004 00BA2510
	v_cmp_u_f32_e64 s[46:47], v93, v93                         // 0000000111D4: D048002E 0002BB5D
	v_add3_u32 v16, v93, v19, 1                                // 0000000111DC: D1FF0010 0206275D
	v_cndmask_b32_e64 v5, v16, v18, s[46:47]                   // 0000000111E4: D1000005 00BA2510
	v_perm_b32 v92, v5, v4, s52                                // 0000000111EC: D1ED005C 00D20905
	v_cmp_u_f32_e64 s[46:47], v94, v94                         // 0000000111F4: D048002E 0002BD5E
	v_add3_u32 v16, v94, v19, 1                                // 0000000111FC: D1FF0010 0206275E
	v_cndmask_b32_e64 v4, v16, v18, s[46:47]                   // 000000011204: D1000004 00BA2510
	v_cmp_u_f32_e64 s[46:47], v95, v95                         // 00000001120C: D048002E 0002BF5F
	v_add3_u32 v16, v95, v19, 1                                // 000000011214: D1FF0010 0206275F
	v_cndmask_b32_e64 v5, v16, v18, s[46:47]                   // 00000001121C: D1000005 00BA2510
	v_perm_b32 v93, v5, v4, s52                                // 000000011224: D1ED005D 00D20905
	v_cmp_u_f32_e64 s[46:47], v96, v96                         // 00000001122C: D048002E 0002C160
	v_add3_u32 v16, v96, v19, 1                                // 000000011234: D1FF0010 02062760
	v_cndmask_b32_e64 v4, v16, v18, s[46:47]                   // 00000001123C: D1000004 00BA2510
	v_cmp_u_f32_e64 s[46:47], v97, v97                         // 000000011244: D048002E 0002C361
	v_add3_u32 v16, v97, v19, 1                                // 00000001124C: D1FF0010 02062761
	v_cndmask_b32_e64 v5, v16, v18, s[46:47]                   // 000000011254: D1000005 00BA2510
	v_perm_b32 v94, v5, v4, s52                                // 00000001125C: D1ED005E 00D20905
	v_cmp_u_f32_e64 s[46:47], v98, v98                         // 000000011264: D048002E 0002C562
	v_add3_u32 v16, v98, v19, 1                                // 00000001126C: D1FF0010 02062762
	v_cndmask_b32_e64 v4, v16, v18, s[46:47]                   // 000000011274: D1000004 00BA2510
	v_cmp_u_f32_e64 s[46:47], v99, v99                         // 00000001127C: D048002E 0002C763
	v_add3_u32 v16, v99, v19, 1                                // 000000011284: D1FF0010 02062763
	v_cndmask_b32_e64 v5, v16, v18, s[46:47]                   // 00000001128C: D1000005 00BA2510
	v_perm_b32 v95, v5, v4, s52                                // 000000011294: D1ED005F 00D20905
	v_cmp_u_f32_e64 s[46:47], v100, v100                       // 00000001129C: D048002E 0002C964
	v_add3_u32 v16, v100, v19, 1                               // 0000000112A4: D1FF0010 02062764
	v_cndmask_b32_e64 v4, v16, v18, s[46:47]                   // 0000000112AC: D1000004 00BA2510
	v_cmp_u_f32_e64 s[46:47], v101, v101                       // 0000000112B4: D048002E 0002CB65
	v_add3_u32 v16, v101, v19, 1                               // 0000000112BC: D1FF0010 02062765
	v_cndmask_b32_e64 v5, v16, v18, s[46:47]                   // 0000000112C4: D1000005 00BA2510
	v_perm_b32 v96, v5, v4, s52                                // 0000000112CC: D1ED0060 00D20905
	v_cmp_u_f32_e64 s[46:47], v102, v102                       // 0000000112D4: D048002E 0002CD66
	v_add3_u32 v16, v102, v19, 1                               // 0000000112DC: D1FF0010 02062766
	v_cndmask_b32_e64 v4, v16, v18, s[46:47]                   // 0000000112E4: D1000004 00BA2510
	v_cmp_u_f32_e64 s[46:47], v103, v103                       // 0000000112EC: D048002E 0002CF67
	v_add3_u32 v16, v103, v19, 1                               // 0000000112F4: D1FF0010 02062767
	v_cndmask_b32_e64 v5, v16, v18, s[46:47]                   // 0000000112FC: D1000005 00BA2510
	v_perm_b32 v97, v5, v4, s52                                // 000000011304: D1ED0061 00D20905
	v_cmp_u_f32_e64 s[46:47], v104, v104                       // 00000001130C: D048002E 0002D168
	v_add3_u32 v16, v104, v19, 1                               // 000000011314: D1FF0010 02062768
	v_cndmask_b32_e64 v4, v16, v18, s[46:47]                   // 00000001131C: D1000004 00BA2510
	v_cmp_u_f32_e64 s[46:47], v105, v105                       // 000000011324: D048002E 0002D369
	v_add3_u32 v16, v105, v19, 1                               // 00000001132C: D1FF0010 02062769
	v_cndmask_b32_e64 v5, v16, v18, s[46:47]                   // 000000011334: D1000005 00BA2510
	v_perm_b32 v98, v5, v4, s52                                // 00000001133C: D1ED0062 00D20905
	v_cmp_u_f32_e64 s[46:47], v106, v106                       // 000000011344: D048002E 0002D56A
	v_add3_u32 v16, v106, v19, 1                               // 00000001134C: D1FF0010 0206276A
	v_cndmask_b32_e64 v4, v16, v18, s[46:47]                   // 000000011354: D1000004 00BA2510
	v_cmp_u_f32_e64 s[46:47], v107, v107                       // 00000001135C: D048002E 0002D76B
	v_add3_u32 v16, v107, v19, 1                               // 000000011364: D1FF0010 0206276B
	v_cndmask_b32_e64 v5, v16, v18, s[46:47]                   // 00000001136C: D1000005 00BA2510
	v_perm_b32 v99, v5, v4, s52                                // 000000011374: D1ED0063 00D20905
	v_cmp_u_f32_e64 s[46:47], v108, v108                       // 00000001137C: D048002E 0002D96C
	v_add3_u32 v16, v108, v19, 1                               // 000000011384: D1FF0010 0206276C
	v_cndmask_b32_e64 v4, v16, v18, s[46:47]                   // 00000001138C: D1000004 00BA2510
	v_cmp_u_f32_e64 s[46:47], v109, v109                       // 000000011394: D048002E 0002DB6D
	v_add3_u32 v16, v109, v19, 1                               // 00000001139C: D1FF0010 0206276D
	v_cndmask_b32_e64 v5, v16, v18, s[46:47]                   // 0000000113A4: D1000005 00BA2510
	v_perm_b32 v100, v5, v4, s52                               // 0000000113AC: D1ED0064 00D20905
	v_cmp_u_f32_e64 s[46:47], v110, v110                       // 0000000113B4: D048002E 0002DD6E
	v_add3_u32 v16, v110, v19, 1                               // 0000000113BC: D1FF0010 0206276E
	v_cndmask_b32_e64 v4, v16, v18, s[46:47]                   // 0000000113C4: D1000004 00BA2510
	v_cmp_u_f32_e64 s[46:47], v111, v111                       // 0000000113CC: D048002E 0002DF6F
	v_add3_u32 v16, v111, v19, 1                               // 0000000113D4: D1FF0010 0206276F
	v_cndmask_b32_e64 v5, v16, v18, s[46:47]                   // 0000000113DC: D1000005 00BA2510
	v_perm_b32 v101, v5, v4, s52                               // 0000000113E4: D1ED0065 00D20905
	v_cmp_u_f32_e64 s[46:47], v112, v112                       // 0000000113EC: D048002E 0002E170
	v_add3_u32 v16, v112, v19, 1                               // 0000000113F4: D1FF0010 02062770
	v_cndmask_b32_e64 v4, v16, v18, s[46:47]                   // 0000000113FC: D1000004 00BA2510
	v_cmp_u_f32_e64 s[46:47], v113, v113                       // 000000011404: D048002E 0002E371
	v_add3_u32 v16, v113, v19, 1                               // 00000001140C: D1FF0010 02062771
	v_cndmask_b32_e64 v5, v16, v18, s[46:47]                   // 000000011414: D1000005 00BA2510
	v_perm_b32 v102, v5, v4, s52                               // 00000001141C: D1ED0066 00D20905
	v_cmp_u_f32_e64 s[46:47], v114, v114                       // 000000011424: D048002E 0002E572
	v_add3_u32 v16, v114, v19, 1                               // 00000001142C: D1FF0010 02062772
	v_cndmask_b32_e64 v4, v16, v18, s[46:47]                   // 000000011434: D1000004 00BA2510
	v_cmp_u_f32_e64 s[46:47], v115, v115                       // 00000001143C: D048002E 0002E773
	v_add3_u32 v16, v115, v19, 1                               // 000000011444: D1FF0010 02062773
	v_cndmask_b32_e64 v5, v16, v18, s[46:47]                   // 00000001144C: D1000005 00BA2510
	v_perm_b32 v103, v5, v4, s52                               // 000000011454: D1ED0067 00D20905
	v_cmp_u_f32_e64 s[46:47], v116, v116                       // 00000001145C: D048002E 0002E974
	v_add3_u32 v16, v116, v19, 1                               // 000000011464: D1FF0010 02062774
	v_cndmask_b32_e64 v4, v16, v18, s[46:47]                   // 00000001146C: D1000004 00BA2510
	v_cmp_u_f32_e64 s[46:47], v117, v117                       // 000000011474: D048002E 0002EB75
	v_add3_u32 v16, v117, v19, 1                               // 00000001147C: D1FF0010 02062775
	v_cndmask_b32_e64 v5, v16, v18, s[46:47]                   // 000000011484: D1000005 00BA2510
	v_perm_b32 v104, v5, v4, s52                               // 00000001148C: D1ED0068 00D20905
	v_cmp_u_f32_e64 s[46:47], v118, v118                       // 000000011494: D048002E 0002ED76
	v_add3_u32 v16, v118, v19, 1                               // 00000001149C: D1FF0010 02062776
	v_cndmask_b32_e64 v4, v16, v18, s[46:47]                   // 0000000114A4: D1000004 00BA2510
	v_cmp_u_f32_e64 s[46:47], v119, v119                       // 0000000114AC: D048002E 0002EF77
	v_add3_u32 v16, v119, v19, 1                               // 0000000114B4: D1FF0010 02062777
	v_cndmask_b32_e64 v5, v16, v18, s[46:47]                   // 0000000114BC: D1000005 00BA2510
	v_perm_b32 v105, v5, v4, s52                               // 0000000114C4: D1ED0069 00D20905
	v_cmp_u_f32_e64 s[46:47], v120, v120                       // 0000000114CC: D048002E 0002F178
	v_add3_u32 v16, v120, v19, 1                               // 0000000114D4: D1FF0010 02062778
	v_cndmask_b32_e64 v4, v16, v18, s[46:47]                   // 0000000114DC: D1000004 00BA2510
	v_cmp_u_f32_e64 s[46:47], v121, v121                       // 0000000114E4: D048002E 0002F379
	v_add3_u32 v16, v121, v19, 1                               // 0000000114EC: D1FF0010 02062779
	v_cndmask_b32_e64 v5, v16, v18, s[46:47]                   // 0000000114F4: D1000005 00BA2510
	v_perm_b32 v106, v5, v4, s52                               // 0000000114FC: D1ED006A 00D20905
	v_cmp_u_f32_e64 s[46:47], v122, v122                       // 000000011504: D048002E 0002F57A
	v_add3_u32 v16, v122, v19, 1                               // 00000001150C: D1FF0010 0206277A
	v_cndmask_b32_e64 v4, v16, v18, s[46:47]                   // 000000011514: D1000004 00BA2510
	v_cmp_u_f32_e64 s[46:47], v123, v123                       // 00000001151C: D048002E 0002F77B
	v_add3_u32 v16, v123, v19, 1                               // 000000011524: D1FF0010 0206277B
	v_cndmask_b32_e64 v5, v16, v18, s[46:47]                   // 00000001152C: D1000005 00BA2510
	v_perm_b32 v107, v5, v4, s52                               // 000000011534: D1ED006B 00D20905
	v_cmp_u_f32_e64 s[46:47], v124, v124                       // 00000001153C: D048002E 0002F97C
	v_add3_u32 v16, v124, v19, 1                               // 000000011544: D1FF0010 0206277C
	v_cndmask_b32_e64 v4, v16, v18, s[46:47]                   // 00000001154C: D1000004 00BA2510
	v_cmp_u_f32_e64 s[46:47], v125, v125                       // 000000011554: D048002E 0002FB7D
	v_add3_u32 v16, v125, v19, 1                               // 00000001155C: D1FF0010 0206277D
	v_cndmask_b32_e64 v5, v16, v18, s[46:47]                   // 000000011564: D1000005 00BA2510
	v_perm_b32 v108, v5, v4, s52                               // 00000001156C: D1ED006C 00D20905
	v_cmp_u_f32_e64 s[46:47], v126, v126                       // 000000011574: D048002E 0002FD7E
	v_add3_u32 v16, v126, v19, 1                               // 00000001157C: D1FF0010 0206277E
	v_cndmask_b32_e64 v4, v16, v18, s[46:47]                   // 000000011584: D1000004 00BA2510
	v_cmp_u_f32_e64 s[46:47], v127, v127                       // 00000001158C: D048002E 0002FF7F
	v_add3_u32 v16, v127, v19, 1                               // 000000011594: D1FF0010 0206277F
	v_cndmask_b32_e64 v5, v16, v18, s[46:47]                   // 00000001159C: D1000005 00BA2510
	v_perm_b32 v109, v5, v4, s52                               // 0000000115A4: D1ED006D 00D20905
	v_cmp_u_f32_e64 s[46:47], v128, v128                       // 0000000115AC: D048002E 00030180
	v_add3_u32 v16, v128, v19, 1                               // 0000000115B4: D1FF0010 02062780
	v_cndmask_b32_e64 v4, v16, v18, s[46:47]                   // 0000000115BC: D1000004 00BA2510
	v_cmp_u_f32_e64 s[46:47], v129, v129                       // 0000000115C4: D048002E 00030381
	v_add3_u32 v16, v129, v19, 1                               // 0000000115CC: D1FF0010 02062781
	v_cndmask_b32_e64 v5, v16, v18, s[46:47]                   // 0000000115D4: D1000005 00BA2510
	v_perm_b32 v110, v5, v4, s52                               // 0000000115DC: D1ED006E 00D20905
	v_cmp_u_f32_e64 s[46:47], v130, v130                       // 0000000115E4: D048002E 00030582
	v_add3_u32 v16, v130, v19, 1                               // 0000000115EC: D1FF0010 02062782
	v_cndmask_b32_e64 v4, v16, v18, s[46:47]                   // 0000000115F4: D1000004 00BA2510
	v_cmp_u_f32_e64 s[46:47], v131, v131                       // 0000000115FC: D048002E 00030783
	v_add3_u32 v16, v131, v19, 1                               // 000000011604: D1FF0010 02062783
	v_cndmask_b32_e64 v5, v16, v18, s[46:47]                   // 00000001160C: D1000005 00BA2510
	v_perm_b32 v111, v5, v4, s52                               // 000000011614: D1ED006F 00D20905
	v_cmp_u_f32_e64 s[46:47], v132, v132                       // 00000001161C: D048002E 00030984
	v_add3_u32 v16, v132, v19, 1                               // 000000011624: D1FF0010 02062784
	v_cndmask_b32_e64 v4, v16, v18, s[46:47]                   // 00000001162C: D1000004 00BA2510
	v_cmp_u_f32_e64 s[46:47], v133, v133                       // 000000011634: D048002E 00030B85
	v_add3_u32 v16, v133, v19, 1                               // 00000001163C: D1FF0010 02062785
	v_cndmask_b32_e64 v5, v16, v18, s[46:47]                   // 000000011644: D1000005 00BA2510
	v_perm_b32 v112, v5, v4, s52                               // 00000001164C: D1ED0070 00D20905
	v_cmp_u_f32_e64 s[46:47], v134, v134                       // 000000011654: D048002E 00030D86
	v_add3_u32 v16, v134, v19, 1                               // 00000001165C: D1FF0010 02062786
	v_cndmask_b32_e64 v4, v16, v18, s[46:47]                   // 000000011664: D1000004 00BA2510
	v_cmp_u_f32_e64 s[46:47], v135, v135                       // 00000001166C: D048002E 00030F87
	v_add3_u32 v16, v135, v19, 1                               // 000000011674: D1FF0010 02062787
	v_cndmask_b32_e64 v5, v16, v18, s[46:47]                   // 00000001167C: D1000005 00BA2510
	v_perm_b32 v113, v5, v4, s52                               // 000000011684: D1ED0071 00D20905
	v_cmp_u_f32_e64 s[46:47], v136, v136                       // 00000001168C: D048002E 00031188
	v_add3_u32 v16, v136, v19, 1                               // 000000011694: D1FF0010 02062788
	v_cndmask_b32_e64 v4, v16, v18, s[46:47]                   // 00000001169C: D1000004 00BA2510
	v_cmp_u_f32_e64 s[46:47], v137, v137                       // 0000000116A4: D048002E 00031389
	v_add3_u32 v16, v137, v19, 1                               // 0000000116AC: D1FF0010 02062789
	v_cndmask_b32_e64 v5, v16, v18, s[46:47]                   // 0000000116B4: D1000005 00BA2510
	v_perm_b32 v114, v5, v4, s52                               // 0000000116BC: D1ED0072 00D20905
	v_cmp_u_f32_e64 s[46:47], v138, v138                       // 0000000116C4: D048002E 0003158A
	v_add3_u32 v16, v138, v19, 1                               // 0000000116CC: D1FF0010 0206278A
	v_cndmask_b32_e64 v4, v16, v18, s[46:47]                   // 0000000116D4: D1000004 00BA2510
	v_cmp_u_f32_e64 s[46:47], v139, v139                       // 0000000116DC: D048002E 0003178B
	v_add3_u32 v16, v139, v19, 1                               // 0000000116E4: D1FF0010 0206278B
	v_cndmask_b32_e64 v5, v16, v18, s[46:47]                   // 0000000116EC: D1000005 00BA2510
	v_perm_b32 v115, v5, v4, s52                               // 0000000116F4: D1ED0073 00D20905
	v_cmp_u_f32_e64 s[46:47], v140, v140                       // 0000000116FC: D048002E 0003198C
	v_add3_u32 v16, v140, v19, 1                               // 000000011704: D1FF0010 0206278C
	v_cndmask_b32_e64 v4, v16, v18, s[46:47]                   // 00000001170C: D1000004 00BA2510
	v_cmp_u_f32_e64 s[46:47], v141, v141                       // 000000011714: D048002E 00031B8D
	v_add3_u32 v16, v141, v19, 1                               // 00000001171C: D1FF0010 0206278D
	v_cndmask_b32_e64 v5, v16, v18, s[46:47]                   // 000000011724: D1000005 00BA2510
	v_perm_b32 v116, v5, v4, s52                               // 00000001172C: D1ED0074 00D20905
	v_cmp_u_f32_e64 s[46:47], v142, v142                       // 000000011734: D048002E 00031D8E
	v_add3_u32 v16, v142, v19, 1                               // 00000001173C: D1FF0010 0206278E
	v_cndmask_b32_e64 v4, v16, v18, s[46:47]                   // 000000011744: D1000004 00BA2510
	v_cmp_u_f32_e64 s[46:47], v143, v143                       // 00000001174C: D048002E 00031F8F
	v_add3_u32 v16, v143, v19, 1                               // 000000011754: D1FF0010 0206278F
	v_cndmask_b32_e64 v5, v16, v18, s[46:47]                   // 00000001175C: D1000005 00BA2510
	v_perm_b32 v117, v5, v4, s52                               // 000000011764: D1ED0075 00D20905
	v_cmp_u_f32_e64 s[46:47], v144, v144                       // 00000001176C: D048002E 00032190
	v_add3_u32 v16, v144, v19, 1                               // 000000011774: D1FF0010 02062790
	v_cndmask_b32_e64 v4, v16, v18, s[46:47]                   // 00000001177C: D1000004 00BA2510
	v_cmp_u_f32_e64 s[46:47], v145, v145                       // 000000011784: D048002E 00032391
	v_add3_u32 v16, v145, v19, 1                               // 00000001178C: D1FF0010 02062791
	v_cndmask_b32_e64 v5, v16, v18, s[46:47]                   // 000000011794: D1000005 00BA2510
	v_perm_b32 v118, v5, v4, s52                               // 00000001179C: D1ED0076 00D20905
	v_cmp_u_f32_e64 s[46:47], v146, v146                       // 0000000117A4: D048002E 00032592
	v_add3_u32 v16, v146, v19, 1                               // 0000000117AC: D1FF0010 02062792
	v_cndmask_b32_e64 v4, v16, v18, s[46:47]                   // 0000000117B4: D1000004 00BA2510
	v_cmp_u_f32_e64 s[46:47], v147, v147                       // 0000000117BC: D048002E 00032793
	v_add3_u32 v16, v147, v19, 1                               // 0000000117C4: D1FF0010 02062793
	v_cndmask_b32_e64 v5, v16, v18, s[46:47]                   // 0000000117CC: D1000005 00BA2510
	v_perm_b32 v119, v5, v4, s52                               // 0000000117D4: D1ED0077 00D20905
	v_cmp_u_f32_e64 s[46:47], v148, v148                       // 0000000117DC: D048002E 00032994
	v_add3_u32 v16, v148, v19, 1                               // 0000000117E4: D1FF0010 02062794
	v_cndmask_b32_e64 v4, v16, v18, s[46:47]                   // 0000000117EC: D1000004 00BA2510
	v_cmp_u_f32_e64 s[46:47], v149, v149                       // 0000000117F4: D048002E 00032B95
	v_add3_u32 v16, v149, v19, 1                               // 0000000117FC: D1FF0010 02062795
	v_cndmask_b32_e64 v5, v16, v18, s[46:47]                   // 000000011804: D1000005 00BA2510
	v_perm_b32 v120, v5, v4, s52                               // 00000001180C: D1ED0078 00D20905
	v_cmp_u_f32_e64 s[46:47], v150, v150                       // 000000011814: D048002E 00032D96
	v_add3_u32 v16, v150, v19, 1                               // 00000001181C: D1FF0010 02062796
	v_cndmask_b32_e64 v4, v16, v18, s[46:47]                   // 000000011824: D1000004 00BA2510
	v_cmp_u_f32_e64 s[46:47], v151, v151                       // 00000001182C: D048002E 00032F97
	v_add3_u32 v16, v151, v19, 1                               // 000000011834: D1FF0010 02062797
	v_cndmask_b32_e64 v5, v16, v18, s[46:47]                   // 00000001183C: D1000005 00BA2510
	v_perm_b32 v121, v5, v4, s52                               // 000000011844: D1ED0079 00D20905
	v_cmp_u_f32_e64 s[46:47], v152, v152                       // 00000001184C: D048002E 00033198
	v_add3_u32 v16, v152, v19, 1                               // 000000011854: D1FF0010 02062798
	v_cndmask_b32_e64 v4, v16, v18, s[46:47]                   // 00000001185C: D1000004 00BA2510
	v_cmp_u_f32_e64 s[46:47], v153, v153                       // 000000011864: D048002E 00033399
	v_add3_u32 v16, v153, v19, 1                               // 00000001186C: D1FF0010 02062799
	v_cndmask_b32_e64 v5, v16, v18, s[46:47]                   // 000000011874: D1000005 00BA2510
	v_perm_b32 v122, v5, v4, s52                               // 00000001187C: D1ED007A 00D20905
	v_cmp_u_f32_e64 s[46:47], v154, v154                       // 000000011884: D048002E 0003359A
	v_add3_u32 v16, v154, v19, 1                               // 00000001188C: D1FF0010 0206279A
	v_cndmask_b32_e64 v4, v16, v18, s[46:47]                   // 000000011894: D1000004 00BA2510
	v_cmp_u_f32_e64 s[46:47], v155, v155                       // 00000001189C: D048002E 0003379B
	v_add3_u32 v16, v155, v19, 1                               // 0000000118A4: D1FF0010 0206279B
	v_cndmask_b32_e64 v5, v16, v18, s[46:47]                   // 0000000118AC: D1000005 00BA2510
	v_perm_b32 v123, v5, v4, s52                               // 0000000118B4: D1ED007B 00D20905
	v_cmp_u_f32_e64 s[46:47], v156, v156                       // 0000000118BC: D048002E 0003399C
	v_add3_u32 v16, v156, v19, 1                               // 0000000118C4: D1FF0010 0206279C
	v_cndmask_b32_e64 v4, v16, v18, s[46:47]                   // 0000000118CC: D1000004 00BA2510
	v_cmp_u_f32_e64 s[46:47], v157, v157                       // 0000000118D4: D048002E 00033B9D
	v_add3_u32 v16, v157, v19, 1                               // 0000000118DC: D1FF0010 0206279D
	v_cndmask_b32_e64 v5, v16, v18, s[46:47]                   // 0000000118E4: D1000005 00BA2510
	v_perm_b32 v124, v5, v4, s52                               // 0000000118EC: D1ED007C 00D20905
	v_cmp_u_f32_e64 s[46:47], v158, v158                       // 0000000118F4: D048002E 00033D9E
	v_add3_u32 v16, v158, v19, 1                               // 0000000118FC: D1FF0010 0206279E
	v_cndmask_b32_e64 v4, v16, v18, s[46:47]                   // 000000011904: D1000004 00BA2510
	v_cmp_u_f32_e64 s[46:47], v159, v159                       // 00000001190C: D048002E 00033F9F
	v_add3_u32 v16, v159, v19, 1                               // 000000011914: D1FF0010 0206279F
	v_cndmask_b32_e64 v5, v16, v18, s[46:47]                   // 00000001191C: D1000005 00BA2510
	v_perm_b32 v125, v5, v4, s52                               // 000000011924: D1ED007D 00D20905
	v_cmp_u_f32_e64 s[46:47], v160, v160                       // 00000001192C: D048002E 000341A0
	v_add3_u32 v16, v160, v19, 1                               // 000000011934: D1FF0010 020627A0
	v_cndmask_b32_e64 v4, v16, v18, s[46:47]                   // 00000001193C: D1000004 00BA2510
	v_cmp_u_f32_e64 s[46:47], v161, v161                       // 000000011944: D048002E 000343A1
	v_add3_u32 v16, v161, v19, 1                               // 00000001194C: D1FF0010 020627A1
	v_cndmask_b32_e64 v5, v16, v18, s[46:47]                   // 000000011954: D1000005 00BA2510
	v_perm_b32 v126, v5, v4, s52                               // 00000001195C: D1ED007E 00D20905
	v_cmp_u_f32_e64 s[46:47], v162, v162                       // 000000011964: D048002E 000345A2
	v_add3_u32 v16, v162, v19, 1                               // 00000001196C: D1FF0010 020627A2
	v_cndmask_b32_e64 v4, v16, v18, s[46:47]                   // 000000011974: D1000004 00BA2510
	v_cmp_u_f32_e64 s[46:47], v163, v163                       // 00000001197C: D048002E 000347A3
	v_add3_u32 v16, v163, v19, 1                               // 000000011984: D1FF0010 020627A3
	v_cndmask_b32_e64 v5, v16, v18, s[46:47]                   // 00000001198C: D1000005 00BA2510
	v_perm_b32 v127, v5, v4, s52                               // 000000011994: D1ED007F 00D20905
	v_cmp_u_f32_e64 s[46:47], v164, v164                       // 00000001199C: D048002E 000349A4
	v_add3_u32 v16, v164, v19, 1                               // 0000000119A4: D1FF0010 020627A4
	v_cndmask_b32_e64 v4, v16, v18, s[46:47]                   // 0000000119AC: D1000004 00BA2510
	v_cmp_u_f32_e64 s[46:47], v165, v165                       // 0000000119B4: D048002E 00034BA5
	v_add3_u32 v16, v165, v19, 1                               // 0000000119BC: D1FF0010 020627A5
	v_cndmask_b32_e64 v5, v16, v18, s[46:47]                   // 0000000119C4: D1000005 00BA2510
	v_perm_b32 v128, v5, v4, s52                               // 0000000119CC: D1ED0080 00D20905
	v_cmp_u_f32_e64 s[46:47], v166, v166                       // 0000000119D4: D048002E 00034DA6
	v_add3_u32 v16, v166, v19, 1                               // 0000000119DC: D1FF0010 020627A6
	v_cndmask_b32_e64 v4, v16, v18, s[46:47]                   // 0000000119E4: D1000004 00BA2510
	v_cmp_u_f32_e64 s[46:47], v167, v167                       // 0000000119EC: D048002E 00034FA7
	v_add3_u32 v16, v167, v19, 1                               // 0000000119F4: D1FF0010 020627A7
	v_cndmask_b32_e64 v5, v16, v18, s[46:47]                   // 0000000119FC: D1000005 00BA2510
	v_perm_b32 v129, v5, v4, s52                               // 000000011A04: D1ED0081 00D20905
	v_cmp_u_f32_e64 s[46:47], v168, v168                       // 000000011A0C: D048002E 000351A8
	v_add3_u32 v16, v168, v19, 1                               // 000000011A14: D1FF0010 020627A8
	v_cndmask_b32_e64 v4, v16, v18, s[46:47]                   // 000000011A1C: D1000004 00BA2510
	v_cmp_u_f32_e64 s[46:47], v169, v169                       // 000000011A24: D048002E 000353A9
	v_add3_u32 v16, v169, v19, 1                               // 000000011A2C: D1FF0010 020627A9
	v_cndmask_b32_e64 v5, v16, v18, s[46:47]                   // 000000011A34: D1000005 00BA2510
	v_perm_b32 v130, v5, v4, s52                               // 000000011A3C: D1ED0082 00D20905
	v_cmp_u_f32_e64 s[46:47], v170, v170                       // 000000011A44: D048002E 000355AA
	v_add3_u32 v16, v170, v19, 1                               // 000000011A4C: D1FF0010 020627AA
	v_cndmask_b32_e64 v4, v16, v18, s[46:47]                   // 000000011A54: D1000004 00BA2510
	v_cmp_u_f32_e64 s[46:47], v171, v171                       // 000000011A5C: D048002E 000357AB
	v_add3_u32 v16, v171, v19, 1                               // 000000011A64: D1FF0010 020627AB
	v_cndmask_b32_e64 v5, v16, v18, s[46:47]                   // 000000011A6C: D1000005 00BA2510
	v_perm_b32 v131, v5, v4, s52                               // 000000011A74: D1ED0083 00D20905
	ds_write_b64 v20, v[92:93]                                 // 000000011A7C: D89A0000 00005C14
	ds_write_b64 v20, v[94:95] offset:4352                     // 000000011A84: D89A1100 00005E14
	ds_write_b64 v20, v[96:97] offset:8704                     // 000000011A8C: D89A2200 00006014
	ds_write_b64 v20, v[98:99] offset:13056                    // 000000011A94: D89A3300 00006214
	ds_write_b64 v20, v[100:101] offset:17408                  // 000000011A9C: D89A4400 00006414
	ds_write_b64 v20, v[102:103] offset:21760                  // 000000011AA4: D89A5500 00006614
	ds_write_b64 v20, v[104:105] offset:26112                  // 000000011AAC: D89A6600 00006814
	ds_write_b64 v20, v[106:107] offset:30464                  // 000000011AB4: D89A7700 00006A14
	ds_write_b64 v20, v[108:109] offset:34816                  // 000000011ABC: D89A8800 00006C14
	ds_write_b64 v20, v[110:111] offset:39168                  // 000000011AC4: D89A9900 00006E14
	ds_write_b64 v20, v[112:113] offset:2176                   // 000000011ACC: D89A0880 00007014
	ds_write_b64 v20, v[114:115] offset:6528                   // 000000011AD4: D89A1980 00007214
	ds_write_b64 v20, v[116:117] offset:10880                  // 000000011ADC: D89A2A80 00007414
	ds_write_b64 v20, v[118:119] offset:15232                  // 000000011AE4: D89A3B80 00007614
	ds_write_b64 v20, v[120:121] offset:19584                  // 000000011AEC: D89A4C80 00007814
	ds_write_b64 v20, v[122:123] offset:23936                  // 000000011AF4: D89A5D80 00007A14
	ds_write_b64 v20, v[124:125] offset:28288                  // 000000011AFC: D89A6E80 00007C14
	ds_write_b64 v20, v[126:127] offset:32640                  // 000000011B04: D89A7F80 00007E14
	ds_write_b64 v20, v[128:129] offset:36992                  // 000000011B0C: D89A9080 00008014
	ds_write_b64 v20, v[130:131] offset:41344                  // 000000011B14: D89AA180 00008214
	v_lshrrev_b32_e32 v4, 5, v0                                // 000000011B1C: 20080085
	v_xor_b32_e32 v5, 1, v4                                    // 000000011B20: 2A0A0881
	s_mul_i32 s60, s65, 2                                      // 000000011B24: 923C8241
	s_cmp_eq_u32 s88, 0                                        // 000000011B28: BF068058
	s_cselect_b32 s61, 1, 4                                    // 000000011B2C: 853D8481
	s_mul_i32 s60, s61, s60                                    // 000000011B30: 923C3C3D
	v_readlane_b32 s82, v3, 0                                  // 000000011B34: D2890052 00010103
	s_lshr_b32 s61, s82, 24                                    // 000000011B3C: 8F3D9852
	s_and_b32 s82, s82, 0xffffff                               // 000000011B40: 8652FF52 00FFFFFF
	s_mul_i32 s82, s82, s71                                    // 000000011B48: 92524752
	s_mul_i32 s61, s60, s61                                    // 000000011B4C: 923D3D3C
	s_add_u32 s82, s82, s61                                    // 000000011B50: 80523D52
	v_mul_lo_u32 v6, v5, s82                                   // 000000011B54: D2850006 0000A505
	v_readlane_b32 s82, v3, 1                                  // 000000011B5C: D2890052 00010303
	s_lshr_b32 s61, s82, 24                                    // 000000011B64: 8F3D9852
	s_and_b32 s82, s82, 0xffffff                               // 000000011B68: 8652FF52 00FFFFFF
	s_mul_i32 s82, s82, s71                                    // 000000011B70: 92524752
	s_mul_i32 s61, s60, s61                                    // 000000011B74: 923D3D3C
	s_add_u32 s82, s82, s61                                    // 000000011B78: 80523D52
	v_mul_lo_u32 v7, v4, s82                                   // 000000011B7C: D2850007 0000A504
	v_add_u32_e32 v70, v6, v7                                  // 000000011B84: 688C0F06
	v_readlane_b32 s82, v3, 2                                  // 000000011B88: D2890052 00010503
	s_lshr_b32 s61, s82, 24                                    // 000000011B90: 8F3D9852
	s_and_b32 s82, s82, 0xffffff                               // 000000011B94: 8652FF52 00FFFFFF
	s_mul_i32 s82, s82, s71                                    // 000000011B9C: 92524752
	s_mul_i32 s61, s60, s61                                    // 000000011BA0: 923D3D3C
	s_add_u32 s82, s82, s61                                    // 000000011BA4: 80523D52
	v_mul_lo_u32 v6, v5, s82                                   // 000000011BA8: D2850006 0000A505
	v_readlane_b32 s82, v3, 3                                  // 000000011BB0: D2890052 00010703
	s_lshr_b32 s61, s82, 24                                    // 000000011BB8: 8F3D9852
	s_and_b32 s82, s82, 0xffffff                               // 000000011BBC: 8652FF52 00FFFFFF
	s_mul_i32 s82, s82, s71                                    // 000000011BC4: 92524752
	s_mul_i32 s61, s60, s61                                    // 000000011BC8: 923D3D3C
	s_add_u32 s82, s82, s61                                    // 000000011BCC: 80523D52
	v_mul_lo_u32 v7, v4, s82                                   // 000000011BD0: D2850007 0000A504
	v_add_u32_e32 v71, v6, v7                                  // 000000011BD8: 688E0F06
	v_readlane_b32 s82, v3, 4                                  // 000000011BDC: D2890052 00010903
	s_lshr_b32 s61, s82, 24                                    // 000000011BE4: 8F3D9852
	s_and_b32 s82, s82, 0xffffff                               // 000000011BE8: 8652FF52 00FFFFFF
	s_mul_i32 s82, s82, s71                                    // 000000011BF0: 92524752
	s_mul_i32 s61, s60, s61                                    // 000000011BF4: 923D3D3C
	s_add_u32 s82, s82, s61                                    // 000000011BF8: 80523D52
	v_mul_lo_u32 v6, v5, s82                                   // 000000011BFC: D2850006 0000A505
	v_readlane_b32 s82, v3, 5                                  // 000000011C04: D2890052 00010B03
	s_lshr_b32 s61, s82, 24                                    // 000000011C0C: 8F3D9852
	s_and_b32 s82, s82, 0xffffff                               // 000000011C10: 8652FF52 00FFFFFF
	s_mul_i32 s82, s82, s71                                    // 000000011C18: 92524752
	s_mul_i32 s61, s60, s61                                    // 000000011C1C: 923D3D3C
	s_add_u32 s82, s82, s61                                    // 000000011C20: 80523D52
	v_mul_lo_u32 v7, v4, s82                                   // 000000011C24: D2850007 0000A504
	v_add_u32_e32 v72, v6, v7                                  // 000000011C2C: 68900F06
	v_readlane_b32 s82, v3, 6                                  // 000000011C30: D2890052 00010D03
	s_lshr_b32 s61, s82, 24                                    // 000000011C38: 8F3D9852
	s_and_b32 s82, s82, 0xffffff                               // 000000011C3C: 8652FF52 00FFFFFF
	s_mul_i32 s82, s82, s71                                    // 000000011C44: 92524752
	s_mul_i32 s61, s60, s61                                    // 000000011C48: 923D3D3C
	s_add_u32 s82, s82, s61                                    // 000000011C4C: 80523D52
	v_mul_lo_u32 v6, v5, s82                                   // 000000011C50: D2850006 0000A505
	v_readlane_b32 s82, v3, 7                                  // 000000011C58: D2890052 00010F03
	s_lshr_b32 s61, s82, 24                                    // 000000011C60: 8F3D9852
	s_and_b32 s82, s82, 0xffffff                               // 000000011C64: 8652FF52 00FFFFFF
	s_mul_i32 s82, s82, s71                                    // 000000011C6C: 92524752
	s_mul_i32 s61, s60, s61                                    // 000000011C70: 923D3D3C
	s_add_u32 s82, s82, s61                                    // 000000011C74: 80523D52
	v_mul_lo_u32 v7, v4, s82                                   // 000000011C78: D2850007 0000A504
	v_add_u32_e32 v73, v6, v7                                  // 000000011C80: 68920F06
	v_readlane_b32 s82, v3, 8                                  // 000000011C84: D2890052 00011103
	s_lshr_b32 s61, s82, 24                                    // 000000011C8C: 8F3D9852
	s_and_b32 s82, s82, 0xffffff                               // 000000011C90: 8652FF52 00FFFFFF
	s_mul_i32 s82, s82, s71                                    // 000000011C98: 92524752
	s_mul_i32 s61, s60, s61                                    // 000000011C9C: 923D3D3C
	s_add_u32 s82, s82, s61                                    // 000000011CA0: 80523D52
	v_mul_lo_u32 v6, v5, s82                                   // 000000011CA4: D2850006 0000A505
	v_readlane_b32 s82, v3, 9                                  // 000000011CAC: D2890052 00011303
	s_lshr_b32 s61, s82, 24                                    // 000000011CB4: 8F3D9852
	s_and_b32 s82, s82, 0xffffff                               // 000000011CB8: 8652FF52 00FFFFFF
	s_mul_i32 s82, s82, s71                                    // 000000011CC0: 92524752
	s_mul_i32 s61, s60, s61                                    // 000000011CC4: 923D3D3C
	s_add_u32 s82, s82, s61                                    // 000000011CC8: 80523D52
	v_mul_lo_u32 v7, v4, s82                                   // 000000011CCC: D2850007 0000A504
	v_add_u32_e32 v74, v6, v7                                  // 000000011CD4: 68940F06
	v_readlane_b32 s82, v3, 10                                 // 000000011CD8: D2890052 00011503
	s_lshr_b32 s61, s82, 24                                    // 000000011CE0: 8F3D9852
	s_and_b32 s82, s82, 0xffffff                               // 000000011CE4: 8652FF52 00FFFFFF
	s_mul_i32 s82, s82, s71                                    // 000000011CEC: 92524752
	s_mul_i32 s61, s60, s61                                    // 000000011CF0: 923D3D3C
	s_add_u32 s82, s82, s61                                    // 000000011CF4: 80523D52
	v_mul_lo_u32 v6, v5, s82                                   // 000000011CF8: D2850006 0000A505
	v_readlane_b32 s82, v3, 11                                 // 000000011D00: D2890052 00011703
	s_lshr_b32 s61, s82, 24                                    // 000000011D08: 8F3D9852
	s_and_b32 s82, s82, 0xffffff                               // 000000011D0C: 8652FF52 00FFFFFF
	s_mul_i32 s82, s82, s71                                    // 000000011D14: 92524752
	s_mul_i32 s61, s60, s61                                    // 000000011D18: 923D3D3C
	s_add_u32 s82, s82, s61                                    // 000000011D1C: 80523D52
	v_mul_lo_u32 v7, v4, s82                                   // 000000011D20: D2850007 0000A504
	v_add_u32_e32 v75, v6, v7                                  // 000000011D28: 68960F06
	v_readlane_b32 s82, v3, 12                                 // 000000011D2C: D2890052 00011903
	s_lshr_b32 s61, s82, 24                                    // 000000011D34: 8F3D9852
	s_and_b32 s82, s82, 0xffffff                               // 000000011D38: 8652FF52 00FFFFFF
	s_mul_i32 s82, s82, s71                                    // 000000011D40: 92524752
	s_mul_i32 s61, s60, s61                                    // 000000011D44: 923D3D3C
	s_add_u32 s82, s82, s61                                    // 000000011D48: 80523D52
	v_mul_lo_u32 v6, v5, s82                                   // 000000011D4C: D2850006 0000A505
	v_readlane_b32 s82, v3, 13                                 // 000000011D54: D2890052 00011B03
	s_lshr_b32 s61, s82, 24                                    // 000000011D5C: 8F3D9852
	s_and_b32 s82, s82, 0xffffff                               // 000000011D60: 8652FF52 00FFFFFF
	s_mul_i32 s82, s82, s71                                    // 000000011D68: 92524752
	s_mul_i32 s61, s60, s61                                    // 000000011D6C: 923D3D3C
	s_add_u32 s82, s82, s61                                    // 000000011D70: 80523D52
	v_mul_lo_u32 v7, v4, s82                                   // 000000011D74: D2850007 0000A504
	v_add_u32_e32 v76, v6, v7                                  // 000000011D7C: 68980F06
	v_readlane_b32 s82, v3, 14                                 // 000000011D80: D2890052 00011D03
	s_lshr_b32 s61, s82, 24                                    // 000000011D88: 8F3D9852
	s_and_b32 s82, s82, 0xffffff                               // 000000011D8C: 8652FF52 00FFFFFF
	s_mul_i32 s82, s82, s71                                    // 000000011D94: 92524752
	s_mul_i32 s61, s60, s61                                    // 000000011D98: 923D3D3C
	s_add_u32 s82, s82, s61                                    // 000000011D9C: 80523D52
	v_mul_lo_u32 v6, v5, s82                                   // 000000011DA0: D2850006 0000A505
	v_readlane_b32 s82, v3, 15                                 // 000000011DA8: D2890052 00011F03
	s_lshr_b32 s61, s82, 24                                    // 000000011DB0: 8F3D9852
	s_and_b32 s82, s82, 0xffffff                               // 000000011DB4: 8652FF52 00FFFFFF
	s_mul_i32 s82, s82, s71                                    // 000000011DBC: 92524752
	s_mul_i32 s61, s60, s61                                    // 000000011DC0: 923D3D3C
	s_add_u32 s82, s82, s61                                    // 000000011DC4: 80523D52
	v_mul_lo_u32 v7, v4, s82                                   // 000000011DC8: D2850007 0000A504
	v_add_u32_e32 v77, v6, v7                                  // 000000011DD0: 689A0F06
	v_readlane_b32 s82, v3, 16                                 // 000000011DD4: D2890052 00012103
	s_lshr_b32 s61, s82, 24                                    // 000000011DDC: 8F3D9852
	s_and_b32 s82, s82, 0xffffff                               // 000000011DE0: 8652FF52 00FFFFFF
	s_mul_i32 s82, s82, s71                                    // 000000011DE8: 92524752
	s_mul_i32 s61, s60, s61                                    // 000000011DEC: 923D3D3C
	s_add_u32 s82, s82, s61                                    // 000000011DF0: 80523D52
	v_mul_lo_u32 v6, v5, s82                                   // 000000011DF4: D2850006 0000A505
	v_readlane_b32 s82, v3, 17                                 // 000000011DFC: D2890052 00012303
	s_lshr_b32 s61, s82, 24                                    // 000000011E04: 8F3D9852
	s_and_b32 s82, s82, 0xffffff                               // 000000011E08: 8652FF52 00FFFFFF
	s_mul_i32 s82, s82, s71                                    // 000000011E10: 92524752
	s_mul_i32 s61, s60, s61                                    // 000000011E14: 923D3D3C
	s_add_u32 s82, s82, s61                                    // 000000011E18: 80523D52
	v_mul_lo_u32 v7, v4, s82                                   // 000000011E1C: D2850007 0000A504
	v_add_u32_e32 v78, v6, v7                                  // 000000011E24: 689C0F06
	v_readlane_b32 s82, v3, 18                                 // 000000011E28: D2890052 00012503
	s_lshr_b32 s61, s82, 24                                    // 000000011E30: 8F3D9852
	s_and_b32 s82, s82, 0xffffff                               // 000000011E34: 8652FF52 00FFFFFF
	s_mul_i32 s82, s82, s71                                    // 000000011E3C: 92524752
	s_mul_i32 s61, s60, s61                                    // 000000011E40: 923D3D3C
	s_add_u32 s82, s82, s61                                    // 000000011E44: 80523D52
	v_mul_lo_u32 v6, v5, s82                                   // 000000011E48: D2850006 0000A505
	v_readlane_b32 s82, v3, 19                                 // 000000011E50: D2890052 00012703
	s_lshr_b32 s61, s82, 24                                    // 000000011E58: 8F3D9852
	s_and_b32 s82, s82, 0xffffff                               // 000000011E5C: 8652FF52 00FFFFFF
	s_mul_i32 s82, s82, s71                                    // 000000011E64: 92524752
	s_mul_i32 s61, s60, s61                                    // 000000011E68: 923D3D3C
	s_add_u32 s82, s82, s61                                    // 000000011E6C: 80523D52
	v_mul_lo_u32 v7, v4, s82                                   // 000000011E70: D2850007 0000A504
	v_add_u32_e32 v79, v6, v7                                  // 000000011E78: 689E0F06
	v_readlane_b32 s82, v3, 20                                 // 000000011E7C: D2890052 00012903
	s_lshr_b32 s61, s82, 24                                    // 000000011E84: 8F3D9852
	s_and_b32 s82, s82, 0xffffff                               // 000000011E88: 8652FF52 00FFFFFF
	s_mul_i32 s82, s82, s71                                    // 000000011E90: 92524752
	s_mul_i32 s61, s60, s61                                    // 000000011E94: 923D3D3C
	s_add_u32 s82, s82, s61                                    // 000000011E98: 80523D52
	v_mul_lo_u32 v6, v5, s82                                   // 000000011E9C: D2850006 0000A505
	v_readlane_b32 s82, v3, 21                                 // 000000011EA4: D2890052 00012B03
	s_lshr_b32 s61, s82, 24                                    // 000000011EAC: 8F3D9852
	s_and_b32 s82, s82, 0xffffff                               // 000000011EB0: 8652FF52 00FFFFFF
	s_mul_i32 s82, s82, s71                                    // 000000011EB8: 92524752
	s_mul_i32 s61, s60, s61                                    // 000000011EBC: 923D3D3C
	s_add_u32 s82, s82, s61                                    // 000000011EC0: 80523D52
	v_mul_lo_u32 v7, v4, s82                                   // 000000011EC4: D2850007 0000A504
	v_add_u32_e32 v80, v6, v7                                  // 000000011ECC: 68A00F06
	v_readlane_b32 s82, v3, 22                                 // 000000011ED0: D2890052 00012D03
	s_lshr_b32 s61, s82, 24                                    // 000000011ED8: 8F3D9852
	s_and_b32 s82, s82, 0xffffff                               // 000000011EDC: 8652FF52 00FFFFFF
	s_mul_i32 s82, s82, s71                                    // 000000011EE4: 92524752
	s_mul_i32 s61, s60, s61                                    // 000000011EE8: 923D3D3C
	s_add_u32 s82, s82, s61                                    // 000000011EEC: 80523D52
	v_mul_lo_u32 v6, v5, s82                                   // 000000011EF0: D2850006 0000A505
	v_readlane_b32 s82, v3, 23                                 // 000000011EF8: D2890052 00012F03
	s_lshr_b32 s61, s82, 24                                    // 000000011F00: 8F3D9852
	s_and_b32 s82, s82, 0xffffff                               // 000000011F04: 8652FF52 00FFFFFF
	s_mul_i32 s82, s82, s71                                    // 000000011F0C: 92524752
	s_mul_i32 s61, s60, s61                                    // 000000011F10: 923D3D3C
	s_add_u32 s82, s82, s61                                    // 000000011F14: 80523D52
	v_mul_lo_u32 v7, v4, s82                                   // 000000011F18: D2850007 0000A504
	v_add_u32_e32 v81, v6, v7                                  // 000000011F20: 68A20F06
	v_readlane_b32 s82, v3, 24                                 // 000000011F24: D2890052 00013103
	s_lshr_b32 s61, s82, 24                                    // 000000011F2C: 8F3D9852
	s_and_b32 s82, s82, 0xffffff                               // 000000011F30: 8652FF52 00FFFFFF
	s_mul_i32 s82, s82, s71                                    // 000000011F38: 92524752
	s_mul_i32 s61, s60, s61                                    // 000000011F3C: 923D3D3C
	s_add_u32 s82, s82, s61                                    // 000000011F40: 80523D52
	v_mul_lo_u32 v6, v5, s82                                   // 000000011F44: D2850006 0000A505
	v_readlane_b32 s82, v3, 25                                 // 000000011F4C: D2890052 00013303
	s_lshr_b32 s61, s82, 24                                    // 000000011F54: 8F3D9852
	s_and_b32 s82, s82, 0xffffff                               // 000000011F58: 8652FF52 00FFFFFF
	s_mul_i32 s82, s82, s71                                    // 000000011F60: 92524752
	s_mul_i32 s61, s60, s61                                    // 000000011F64: 923D3D3C
	s_add_u32 s82, s82, s61                                    // 000000011F68: 80523D52
	v_mul_lo_u32 v7, v4, s82                                   // 000000011F6C: D2850007 0000A504
	v_add_u32_e32 v82, v6, v7                                  // 000000011F74: 68A40F06
	v_readlane_b32 s82, v3, 26                                 // 000000011F78: D2890052 00013503
	s_lshr_b32 s61, s82, 24                                    // 000000011F80: 8F3D9852
	s_and_b32 s82, s82, 0xffffff                               // 000000011F84: 8652FF52 00FFFFFF
	s_mul_i32 s82, s82, s71                                    // 000000011F8C: 92524752
	s_mul_i32 s61, s60, s61                                    // 000000011F90: 923D3D3C
	s_add_u32 s82, s82, s61                                    // 000000011F94: 80523D52
	v_mul_lo_u32 v6, v5, s82                                   // 000000011F98: D2850006 0000A505
	v_readlane_b32 s82, v3, 27                                 // 000000011FA0: D2890052 00013703
	s_lshr_b32 s61, s82, 24                                    // 000000011FA8: 8F3D9852
	s_and_b32 s82, s82, 0xffffff                               // 000000011FAC: 8652FF52 00FFFFFF
	s_mul_i32 s82, s82, s71                                    // 000000011FB4: 92524752
	s_mul_i32 s61, s60, s61                                    // 000000011FB8: 923D3D3C
	s_add_u32 s82, s82, s61                                    // 000000011FBC: 80523D52
	v_mul_lo_u32 v7, v4, s82                                   // 000000011FC0: D2850007 0000A504
	v_add_u32_e32 v83, v6, v7                                  // 000000011FC8: 68A60F06
	v_readlane_b32 s82, v3, 28                                 // 000000011FCC: D2890052 00013903
	s_lshr_b32 s61, s82, 24                                    // 000000011FD4: 8F3D9852
	s_and_b32 s82, s82, 0xffffff                               // 000000011FD8: 8652FF52 00FFFFFF
	s_mul_i32 s82, s82, s71                                    // 000000011FE0: 92524752
	s_mul_i32 s61, s60, s61                                    // 000000011FE4: 923D3D3C
	s_add_u32 s82, s82, s61                                    // 000000011FE8: 80523D52
	v_mul_lo_u32 v6, v5, s82                                   // 000000011FEC: D2850006 0000A505
	v_readlane_b32 s82, v3, 29                                 // 000000011FF4: D2890052 00013B03
	s_lshr_b32 s61, s82, 24                                    // 000000011FFC: 8F3D9852
	s_and_b32 s82, s82, 0xffffff                               // 000000012000: 8652FF52 00FFFFFF
	s_mul_i32 s82, s82, s71                                    // 000000012008: 92524752
	s_mul_i32 s61, s60, s61                                    // 00000001200C: 923D3D3C
	s_add_u32 s82, s82, s61                                    // 000000012010: 80523D52
	v_mul_lo_u32 v7, v4, s82                                   // 000000012014: D2850007 0000A504
	v_add_u32_e32 v84, v6, v7                                  // 00000001201C: 68A80F06
	v_readlane_b32 s82, v3, 30                                 // 000000012020: D2890052 00013D03
	s_lshr_b32 s61, s82, 24                                    // 000000012028: 8F3D9852
	s_and_b32 s82, s82, 0xffffff                               // 00000001202C: 8652FF52 00FFFFFF
	s_mul_i32 s82, s82, s71                                    // 000000012034: 92524752
	s_mul_i32 s61, s60, s61                                    // 000000012038: 923D3D3C
	s_add_u32 s82, s82, s61                                    // 00000001203C: 80523D52
	v_mul_lo_u32 v6, v5, s82                                   // 000000012040: D2850006 0000A505
	v_readlane_b32 s82, v3, 31                                 // 000000012048: D2890052 00013F03
	s_lshr_b32 s61, s82, 24                                    // 000000012050: 8F3D9852
	s_and_b32 s82, s82, 0xffffff                               // 000000012054: 8652FF52 00FFFFFF
	s_mul_i32 s82, s82, s71                                    // 00000001205C: 92524752
	s_mul_i32 s61, s60, s61                                    // 000000012060: 923D3D3C
	s_add_u32 s82, s82, s61                                    // 000000012064: 80523D52
	v_mul_lo_u32 v7, v4, s82                                   // 000000012068: D2850007 0000A504
	v_add_u32_e32 v85, v6, v7                                  // 000000012070: 68AA0F06
	v_readlane_b32 s82, v3, 32                                 // 000000012074: D2890052 00014103
	s_lshr_b32 s61, s82, 24                                    // 00000001207C: 8F3D9852
	s_and_b32 s82, s82, 0xffffff                               // 000000012080: 8652FF52 00FFFFFF
	s_mul_i32 s82, s82, s71                                    // 000000012088: 92524752
	s_mul_i32 s61, s60, s61                                    // 00000001208C: 923D3D3C
	s_add_u32 s82, s82, s61                                    // 000000012090: 80523D52
	v_mul_lo_u32 v6, v5, s82                                   // 000000012094: D2850006 0000A505
	v_readlane_b32 s82, v3, 33                                 // 00000001209C: D2890052 00014303
	s_lshr_b32 s61, s82, 24                                    // 0000000120A4: 8F3D9852
	s_and_b32 s82, s82, 0xffffff                               // 0000000120A8: 8652FF52 00FFFFFF
	s_mul_i32 s82, s82, s71                                    // 0000000120B0: 92524752
	s_mul_i32 s61, s60, s61                                    // 0000000120B4: 923D3D3C
	s_add_u32 s82, s82, s61                                    // 0000000120B8: 80523D52
	v_mul_lo_u32 v7, v4, s82                                   // 0000000120BC: D2850007 0000A504
	v_add_u32_e32 v86, v6, v7                                  // 0000000120C4: 68AC0F06
	v_readlane_b32 s82, v3, 34                                 // 0000000120C8: D2890052 00014503
	s_lshr_b32 s61, s82, 24                                    // 0000000120D0: 8F3D9852
	s_and_b32 s82, s82, 0xffffff                               // 0000000120D4: 8652FF52 00FFFFFF
	s_mul_i32 s82, s82, s71                                    // 0000000120DC: 92524752
	s_mul_i32 s61, s60, s61                                    // 0000000120E0: 923D3D3C
	s_add_u32 s82, s82, s61                                    // 0000000120E4: 80523D52
	v_mul_lo_u32 v6, v5, s82                                   // 0000000120E8: D2850006 0000A505
	v_readlane_b32 s82, v3, 35                                 // 0000000120F0: D2890052 00014703
	s_lshr_b32 s61, s82, 24                                    // 0000000120F8: 8F3D9852
	s_and_b32 s82, s82, 0xffffff                               // 0000000120FC: 8652FF52 00FFFFFF
	s_mul_i32 s82, s82, s71                                    // 000000012104: 92524752
	s_mul_i32 s61, s60, s61                                    // 000000012108: 923D3D3C
	s_add_u32 s82, s82, s61                                    // 00000001210C: 80523D52
	v_mul_lo_u32 v7, v4, s82                                   // 000000012110: D2850007 0000A504
	v_add_u32_e32 v87, v6, v7                                  // 000000012118: 68AE0F06
	v_readlane_b32 s82, v3, 36                                 // 00000001211C: D2890052 00014903
	s_lshr_b32 s61, s82, 24                                    // 000000012124: 8F3D9852
	s_and_b32 s82, s82, 0xffffff                               // 000000012128: 8652FF52 00FFFFFF
	s_mul_i32 s82, s82, s71                                    // 000000012130: 92524752
	s_mul_i32 s61, s60, s61                                    // 000000012134: 923D3D3C
	s_add_u32 s82, s82, s61                                    // 000000012138: 80523D52
	v_mul_lo_u32 v6, v5, s82                                   // 00000001213C: D2850006 0000A505
	v_readlane_b32 s82, v3, 37                                 // 000000012144: D2890052 00014B03
	s_lshr_b32 s61, s82, 24                                    // 00000001214C: 8F3D9852
	s_and_b32 s82, s82, 0xffffff                               // 000000012150: 8652FF52 00FFFFFF
	s_mul_i32 s82, s82, s71                                    // 000000012158: 92524752
	s_mul_i32 s61, s60, s61                                    // 00000001215C: 923D3D3C
	s_add_u32 s82, s82, s61                                    // 000000012160: 80523D52
	v_mul_lo_u32 v7, v4, s82                                   // 000000012164: D2850007 0000A504
	v_add_u32_e32 v88, v6, v7                                  // 00000001216C: 68B00F06
	v_readlane_b32 s82, v3, 38                                 // 000000012170: D2890052 00014D03
	s_lshr_b32 s61, s82, 24                                    // 000000012178: 8F3D9852
	s_and_b32 s82, s82, 0xffffff                               // 00000001217C: 8652FF52 00FFFFFF
	s_mul_i32 s82, s82, s71                                    // 000000012184: 92524752
	s_mul_i32 s61, s60, s61                                    // 000000012188: 923D3D3C
	s_add_u32 s82, s82, s61                                    // 00000001218C: 80523D52
	v_mul_lo_u32 v6, v5, s82                                   // 000000012190: D2850006 0000A505
	v_readlane_b32 s82, v3, 39                                 // 000000012198: D2890052 00014F03
	s_lshr_b32 s61, s82, 24                                    // 0000000121A0: 8F3D9852
	s_and_b32 s82, s82, 0xffffff                               // 0000000121A4: 8652FF52 00FFFFFF
	s_mul_i32 s82, s82, s71                                    // 0000000121AC: 92524752
	s_mul_i32 s61, s60, s61                                    // 0000000121B0: 923D3D3C
	s_add_u32 s82, s82, s61                                    // 0000000121B4: 80523D52
	v_mul_lo_u32 v7, v4, s82                                   // 0000000121B8: D2850007 0000A504
	v_add_u32_e32 v89, v6, v7                                  // 0000000121C0: 68B20F06
	v_and_b32_e32 v4, 31, v0                                   // 0000000121C4: 2608009F
	v_lshrrev_b32_e32 v4, 1, v4                                // 0000000121C8: 20080881
	s_cmp_eq_u32 s88, 0                                        // 0000000121CC: BF068058
	s_cselect_b32 s61, 2, 4                                    // 0000000121D0: 853D8482
	v_mul_lo_u32 v4, v4, s61                                   // 0000000121D4: D2850004 00007B04
	v_and_b32_e64 v5, v0, 1                                    // 0000000121DC: D1130005 00010300
	v_add_u32_e32 v4, v4, v5                                   // 0000000121E4: 68080B04
	v_lshlrev_b32_e32 v4, 2, v4                                // 0000000121E8: 24080882
	v_add_u32_e32 v70, v70, v4                                 // 0000000121EC: 688C0946
	v_add_u32_e32 v71, v71, v4                                 // 0000000121F0: 688E0947
	v_add_u32_e32 v72, v72, v4                                 // 0000000121F4: 68900948
	v_add_u32_e32 v73, v73, v4                                 // 0000000121F8: 68920949
	v_add_u32_e32 v74, v74, v4                                 // 0000000121FC: 6894094A
	v_add_u32_e32 v75, v75, v4                                 // 000000012200: 6896094B
	v_add_u32_e32 v76, v76, v4                                 // 000000012204: 6898094C
	v_add_u32_e32 v77, v77, v4                                 // 000000012208: 689A094D
	v_add_u32_e32 v78, v78, v4                                 // 00000001220C: 689C094E
	v_add_u32_e32 v79, v79, v4                                 // 000000012210: 689E094F
	v_add_u32_e32 v80, v80, v4                                 // 000000012214: 68A00950
	v_add_u32_e32 v81, v81, v4                                 // 000000012218: 68A20951
	v_add_u32_e32 v82, v82, v4                                 // 00000001221C: 68A40952
	v_add_u32_e32 v83, v83, v4                                 // 000000012220: 68A60953
	v_add_u32_e32 v84, v84, v4                                 // 000000012224: 68A80954
	v_add_u32_e32 v85, v85, v4                                 // 000000012228: 68AA0955
	v_add_u32_e32 v86, v86, v4                                 // 00000001222C: 68AC0956
	v_add_u32_e32 v87, v87, v4                                 // 000000012230: 68AE0957
	v_add_u32_e32 v88, v88, v4                                 // 000000012234: 68B00958
	v_add_u32_e32 v89, v89, v4                                 // 000000012238: 68B20959
	s_waitcnt lgkmcnt(0)                                       // 00000001223C: BF8CC07F
	s_barrier                                                  // 000000012240: BF8A0000
	ds_read_b32 v92, v21                                       // 000000012244: D86C0000 5C000015
	ds_read_b32 v93, v21 offset:64                             // 00000001224C: D86C0040 5D000015
	ds_read_b32 v94, v21 offset:2176                           // 000000012254: D86C0880 5E000015
	ds_read_b32 v95, v21 offset:2240                           // 00000001225C: D86C08C0 5F000015
	ds_read_b32 v96, v21 offset:4352                           // 000000012264: D86C1100 60000015
	ds_read_b32 v97, v21 offset:4416                           // 00000001226C: D86C1140 61000015
	ds_read_b32 v98, v21 offset:6528                           // 000000012274: D86C1980 62000015
	ds_read_b32 v99, v21 offset:6592                           // 00000001227C: D86C19C0 63000015
	ds_read_b32 v100, v21 offset:8704                          // 000000012284: D86C2200 64000015
	ds_read_b32 v101, v21 offset:8768                          // 00000001228C: D86C2240 65000015
	ds_read_b32 v102, v21 offset:10880                         // 000000012294: D86C2A80 66000015
	ds_read_b32 v103, v21 offset:10944                         // 00000001229C: D86C2AC0 67000015
	ds_read_b32 v104, v21 offset:13056                         // 0000000122A4: D86C3300 68000015
	ds_read_b32 v105, v21 offset:13120                         // 0000000122AC: D86C3340 69000015
	ds_read_b32 v106, v21 offset:15232                         // 0000000122B4: D86C3B80 6A000015
	ds_read_b32 v107, v21 offset:15296                         // 0000000122BC: D86C3BC0 6B000015
	ds_read_b32 v108, v21 offset:17408                         // 0000000122C4: D86C4400 6C000015
	ds_read_b32 v109, v21 offset:17472                         // 0000000122CC: D86C4440 6D000015
	ds_read_b32 v110, v21 offset:19584                         // 0000000122D4: D86C4C80 6E000015
	ds_read_b32 v111, v21 offset:19648                         // 0000000122DC: D86C4CC0 6F000015
	ds_read_b32 v112, v21 offset:21760                         // 0000000122E4: D86C5500 70000015
	ds_read_b32 v113, v21 offset:21824                         // 0000000122EC: D86C5540 71000015
	ds_read_b32 v114, v21 offset:23936                         // 0000000122F4: D86C5D80 72000015
	ds_read_b32 v115, v21 offset:24000                         // 0000000122FC: D86C5DC0 73000015
	ds_read_b32 v116, v21 offset:26112                         // 000000012304: D86C6600 74000015
	ds_read_b32 v117, v21 offset:26176                         // 00000001230C: D86C6640 75000015
	ds_read_b32 v118, v21 offset:28288                         // 000000012314: D86C6E80 76000015
	ds_read_b32 v119, v21 offset:28352                         // 00000001231C: D86C6EC0 77000015
	ds_read_b32 v120, v21 offset:30464                         // 000000012324: D86C7700 78000015
	ds_read_b32 v121, v21 offset:30528                         // 00000001232C: D86C7740 79000015
	ds_read_b32 v122, v21 offset:32640                         // 000000012334: D86C7F80 7A000015
	ds_read_b32 v123, v21 offset:32704                         // 00000001233C: D86C7FC0 7B000015
	ds_read_b32 v124, v21 offset:34816                         // 000000012344: D86C8800 7C000015
	ds_read_b32 v125, v21 offset:34880                         // 00000001234C: D86C8840 7D000015
	ds_read_b32 v126, v21 offset:36992                         // 000000012354: D86C9080 7E000015
	ds_read_b32 v127, v21 offset:37056                         // 00000001235C: D86C90C0 7F000015
	ds_read_b32 v128, v21 offset:39168                         // 000000012364: D86C9900 80000015
	ds_read_b32 v129, v21 offset:39232                         // 00000001236C: D86C9940 81000015
	ds_read_b32 v130, v21 offset:41344                         // 000000012374: D86CA180 82000015
	ds_read_b32 v131, v21 offset:41408                         // 00000001237C: D86CA1C0 83000015
	s_waitcnt lgkmcnt(0)                                       // 000000012384: BF8CC07F
	s_mov_b32 s36, -1                                          // 000000012388: BEA400C1
	s_mov_b32 s37, -1                                          // 00000001238C: BEA500C1
	v_mov_b32_e32 v7, 0                                        // 000000012390: 7E0E0280
	s_or_b32 s9, s9, 0x40000                                   // 000000012394: 8709FF09 00040000
	s_mov_b64 exec, s[36:37]                                   // 00000001239C: BEFE0124
	v_mov_b32_e32 v6, v70                                      // 0000000123A0: 7E0C0346
	s_mov_b64 s[60:61], 0                                      // 0000000123A4: BEBC0180
	v_readlane_b32 s82, v3, 0                                  // 0000000123A8: D2890052 00010103
	s_and_b32 s82, s82, 0xffffff                               // 0000000123B0: 8652FF52 00FFFFFF
	s_cmp_lt_u32 s82, s66                                      // 0000000123B8: BF0A4252
	s_cselect_b32 s20, s36, s60                                // 0000000123BC: 85143C24
	v_readlane_b32 s82, v3, 1                                  // 0000000123C0: D2890052 00010303
	s_and_b32 s82, s82, 0xffffff                               // 0000000123C8: 8652FF52 00FFFFFF
	s_cmp_lt_u32 s82, s66                                      // 0000000123D0: BF0A4252
	s_cselect_b32 s21, s36, s60                                // 0000000123D4: 85153C24
	s_mov_b64 exec, s[20:21]                                   // 0000000123D8: BEFE0114
	buffer_store_dword v92, v6, s[8:11], 0 offen               // 0000000123DC: E0701000 80025C06
	buffer_store_dword v94, v6, s[8:11], 0 offen offset:128    // 0000000123E4: E0701080 80025E06
	s_mov_b64 exec, s[36:37]                                   // 0000000123EC: BEFE0124
	v_mov_b32_e32 v6, v71                                      // 0000000123F0: 7E0C0347
	s_mov_b64 s[60:61], 0                                      // 0000000123F4: BEBC0180
	v_readlane_b32 s82, v3, 2                                  // 0000000123F8: D2890052 00010503
	s_and_b32 s82, s82, 0xffffff                               // 000000012400: 8652FF52 00FFFFFF
	s_cmp_lt_u32 s82, s66                                      // 000000012408: BF0A4252
	s_cselect_b32 s20, s36, s60                                // 00000001240C: 85143C24
	v_readlane_b32 s82, v3, 3                                  // 000000012410: D2890052 00010703
	s_and_b32 s82, s82, 0xffffff                               // 000000012418: 8652FF52 00FFFFFF
	s_cmp_lt_u32 s82, s66                                      // 000000012420: BF0A4252
	s_cselect_b32 s21, s36, s60                                // 000000012424: 85153C24
	s_mov_b64 exec, s[20:21]                                   // 000000012428: BEFE0114
	buffer_store_dword v93, v6, s[8:11], 0 offen               // 00000001242C: E0701000 80025D06
	buffer_store_dword v95, v6, s[8:11], 0 offen offset:128    // 000000012434: E0701080 80025F06
	s_mov_b64 exec, s[36:37]                                   // 00000001243C: BEFE0124
	v_mov_b32_e32 v6, v72                                      // 000000012440: 7E0C0348
	s_mov_b64 s[60:61], 0                                      // 000000012444: BEBC0180
	v_readlane_b32 s82, v3, 4                                  // 000000012448: D2890052 00010903
	s_and_b32 s82, s82, 0xffffff                               // 000000012450: 8652FF52 00FFFFFF
	s_cmp_lt_u32 s82, s66                                      // 000000012458: BF0A4252
	s_cselect_b32 s20, s36, s60                                // 00000001245C: 85143C24
	v_readlane_b32 s82, v3, 5                                  // 000000012460: D2890052 00010B03
	s_and_b32 s82, s82, 0xffffff                               // 000000012468: 8652FF52 00FFFFFF
	s_cmp_lt_u32 s82, s66                                      // 000000012470: BF0A4252
	s_cselect_b32 s21, s36, s60                                // 000000012474: 85153C24
	s_mov_b64 exec, s[20:21]                                   // 000000012478: BEFE0114
	buffer_store_dword v96, v6, s[8:11], 0 offen               // 00000001247C: E0701000 80026006
	buffer_store_dword v98, v6, s[8:11], 0 offen offset:128    // 000000012484: E0701080 80026206
	s_mov_b64 exec, s[36:37]                                   // 00000001248C: BEFE0124
	v_mov_b32_e32 v6, v73                                      // 000000012490: 7E0C0349
	s_mov_b64 s[60:61], 0                                      // 000000012494: BEBC0180
	v_readlane_b32 s82, v3, 6                                  // 000000012498: D2890052 00010D03
	s_and_b32 s82, s82, 0xffffff                               // 0000000124A0: 8652FF52 00FFFFFF
	s_cmp_lt_u32 s82, s66                                      // 0000000124A8: BF0A4252
	s_cselect_b32 s20, s36, s60                                // 0000000124AC: 85143C24
	v_readlane_b32 s82, v3, 7                                  // 0000000124B0: D2890052 00010F03
	s_and_b32 s82, s82, 0xffffff                               // 0000000124B8: 8652FF52 00FFFFFF
	s_cmp_lt_u32 s82, s66                                      // 0000000124C0: BF0A4252
	s_cselect_b32 s21, s36, s60                                // 0000000124C4: 85153C24
	s_mov_b64 exec, s[20:21]                                   // 0000000124C8: BEFE0114
	buffer_store_dword v97, v6, s[8:11], 0 offen               // 0000000124CC: E0701000 80026106
	buffer_store_dword v99, v6, s[8:11], 0 offen offset:128    // 0000000124D4: E0701080 80026306
	s_mov_b64 exec, s[36:37]                                   // 0000000124DC: BEFE0124
	v_mov_b32_e32 v6, v74                                      // 0000000124E0: 7E0C034A
	s_mov_b64 s[60:61], 0                                      // 0000000124E4: BEBC0180
	v_readlane_b32 s82, v3, 8                                  // 0000000124E8: D2890052 00011103
	s_and_b32 s82, s82, 0xffffff                               // 0000000124F0: 8652FF52 00FFFFFF
	s_cmp_lt_u32 s82, s66                                      // 0000000124F8: BF0A4252
	s_cselect_b32 s20, s36, s60                                // 0000000124FC: 85143C24
	v_readlane_b32 s82, v3, 9                                  // 000000012500: D2890052 00011303
	s_and_b32 s82, s82, 0xffffff                               // 000000012508: 8652FF52 00FFFFFF
	s_cmp_lt_u32 s82, s66                                      // 000000012510: BF0A4252
	s_cselect_b32 s21, s36, s60                                // 000000012514: 85153C24
	s_mov_b64 exec, s[20:21]                                   // 000000012518: BEFE0114
	buffer_store_dword v100, v6, s[8:11], 0 offen              // 00000001251C: E0701000 80026406
	buffer_store_dword v102, v6, s[8:11], 0 offen offset:128   // 000000012524: E0701080 80026606
	s_mov_b64 exec, s[36:37]                                   // 00000001252C: BEFE0124
	v_mov_b32_e32 v6, v75                                      // 000000012530: 7E0C034B
	s_mov_b64 s[60:61], 0                                      // 000000012534: BEBC0180
	v_readlane_b32 s82, v3, 10                                 // 000000012538: D2890052 00011503
	s_and_b32 s82, s82, 0xffffff                               // 000000012540: 8652FF52 00FFFFFF
	s_cmp_lt_u32 s82, s66                                      // 000000012548: BF0A4252
	s_cselect_b32 s20, s36, s60                                // 00000001254C: 85143C24
	v_readlane_b32 s82, v3, 11                                 // 000000012550: D2890052 00011703
	s_and_b32 s82, s82, 0xffffff                               // 000000012558: 8652FF52 00FFFFFF
	s_cmp_lt_u32 s82, s66                                      // 000000012560: BF0A4252
	s_cselect_b32 s21, s36, s60                                // 000000012564: 85153C24
	s_mov_b64 exec, s[20:21]                                   // 000000012568: BEFE0114
	buffer_store_dword v101, v6, s[8:11], 0 offen              // 00000001256C: E0701000 80026506
	buffer_store_dword v103, v6, s[8:11], 0 offen offset:128   // 000000012574: E0701080 80026706
	s_mov_b64 exec, s[36:37]                                   // 00000001257C: BEFE0124
	v_mov_b32_e32 v6, v76                                      // 000000012580: 7E0C034C
	s_mov_b64 s[60:61], 0                                      // 000000012584: BEBC0180
	v_readlane_b32 s82, v3, 12                                 // 000000012588: D2890052 00011903
	s_and_b32 s82, s82, 0xffffff                               // 000000012590: 8652FF52 00FFFFFF
	s_cmp_lt_u32 s82, s66                                      // 000000012598: BF0A4252
	s_cselect_b32 s20, s36, s60                                // 00000001259C: 85143C24
	v_readlane_b32 s82, v3, 13                                 // 0000000125A0: D2890052 00011B03
	s_and_b32 s82, s82, 0xffffff                               // 0000000125A8: 8652FF52 00FFFFFF
	s_cmp_lt_u32 s82, s66                                      // 0000000125B0: BF0A4252
	s_cselect_b32 s21, s36, s60                                // 0000000125B4: 85153C24
	s_mov_b64 exec, s[20:21]                                   // 0000000125B8: BEFE0114
	buffer_store_dword v104, v6, s[8:11], 0 offen              // 0000000125BC: E0701000 80026806
	buffer_store_dword v106, v6, s[8:11], 0 offen offset:128   // 0000000125C4: E0701080 80026A06
	s_mov_b64 exec, s[36:37]                                   // 0000000125CC: BEFE0124
	v_mov_b32_e32 v6, v77                                      // 0000000125D0: 7E0C034D
	s_mov_b64 s[60:61], 0                                      // 0000000125D4: BEBC0180
	v_readlane_b32 s82, v3, 14                                 // 0000000125D8: D2890052 00011D03
	s_and_b32 s82, s82, 0xffffff                               // 0000000125E0: 8652FF52 00FFFFFF
	s_cmp_lt_u32 s82, s66                                      // 0000000125E8: BF0A4252
	s_cselect_b32 s20, s36, s60                                // 0000000125EC: 85143C24
	v_readlane_b32 s82, v3, 15                                 // 0000000125F0: D2890052 00011F03
	s_and_b32 s82, s82, 0xffffff                               // 0000000125F8: 8652FF52 00FFFFFF
	s_cmp_lt_u32 s82, s66                                      // 000000012600: BF0A4252
	s_cselect_b32 s21, s36, s60                                // 000000012604: 85153C24
	s_mov_b64 exec, s[20:21]                                   // 000000012608: BEFE0114
	buffer_store_dword v105, v6, s[8:11], 0 offen              // 00000001260C: E0701000 80026906
	buffer_store_dword v107, v6, s[8:11], 0 offen offset:128   // 000000012614: E0701080 80026B06
	s_mov_b64 exec, s[36:37]                                   // 00000001261C: BEFE0124
	v_mov_b32_e32 v6, v78                                      // 000000012620: 7E0C034E
	s_mov_b64 s[60:61], 0                                      // 000000012624: BEBC0180
	v_readlane_b32 s82, v3, 16                                 // 000000012628: D2890052 00012103
	s_and_b32 s82, s82, 0xffffff                               // 000000012630: 8652FF52 00FFFFFF
	s_cmp_lt_u32 s82, s66                                      // 000000012638: BF0A4252
	s_cselect_b32 s20, s36, s60                                // 00000001263C: 85143C24
	v_readlane_b32 s82, v3, 17                                 // 000000012640: D2890052 00012303
	s_and_b32 s82, s82, 0xffffff                               // 000000012648: 8652FF52 00FFFFFF
	s_cmp_lt_u32 s82, s66                                      // 000000012650: BF0A4252
	s_cselect_b32 s21, s36, s60                                // 000000012654: 85153C24
	s_mov_b64 exec, s[20:21]                                   // 000000012658: BEFE0114
	buffer_store_dword v108, v6, s[8:11], 0 offen              // 00000001265C: E0701000 80026C06
	buffer_store_dword v110, v6, s[8:11], 0 offen offset:128   // 000000012664: E0701080 80026E06
	s_mov_b64 exec, s[36:37]                                   // 00000001266C: BEFE0124
	v_mov_b32_e32 v6, v79                                      // 000000012670: 7E0C034F
	s_mov_b64 s[60:61], 0                                      // 000000012674: BEBC0180
	v_readlane_b32 s82, v3, 18                                 // 000000012678: D2890052 00012503
	s_and_b32 s82, s82, 0xffffff                               // 000000012680: 8652FF52 00FFFFFF
	s_cmp_lt_u32 s82, s66                                      // 000000012688: BF0A4252
	s_cselect_b32 s20, s36, s60                                // 00000001268C: 85143C24
	v_readlane_b32 s82, v3, 19                                 // 000000012690: D2890052 00012703
	s_and_b32 s82, s82, 0xffffff                               // 000000012698: 8652FF52 00FFFFFF
	s_cmp_lt_u32 s82, s66                                      // 0000000126A0: BF0A4252
	s_cselect_b32 s21, s36, s60                                // 0000000126A4: 85153C24
	s_mov_b64 exec, s[20:21]                                   // 0000000126A8: BEFE0114
	buffer_store_dword v109, v6, s[8:11], 0 offen              // 0000000126AC: E0701000 80026D06
	buffer_store_dword v111, v6, s[8:11], 0 offen offset:128   // 0000000126B4: E0701080 80026F06
	s_mov_b64 exec, s[36:37]                                   // 0000000126BC: BEFE0124
	v_mov_b32_e32 v6, v80                                      // 0000000126C0: 7E0C0350
	s_mov_b64 s[60:61], 0                                      // 0000000126C4: BEBC0180
	v_readlane_b32 s82, v3, 20                                 // 0000000126C8: D2890052 00012903
	s_and_b32 s82, s82, 0xffffff                               // 0000000126D0: 8652FF52 00FFFFFF
	s_cmp_lt_u32 s82, s66                                      // 0000000126D8: BF0A4252
	s_cselect_b32 s20, s36, s60                                // 0000000126DC: 85143C24
	v_readlane_b32 s82, v3, 21                                 // 0000000126E0: D2890052 00012B03
	s_and_b32 s82, s82, 0xffffff                               // 0000000126E8: 8652FF52 00FFFFFF
	s_cmp_lt_u32 s82, s66                                      // 0000000126F0: BF0A4252
	s_cselect_b32 s21, s36, s60                                // 0000000126F4: 85153C24
	s_mov_b64 exec, s[20:21]                                   // 0000000126F8: BEFE0114
	buffer_store_dword v112, v6, s[8:11], 0 offen              // 0000000126FC: E0701000 80027006
	buffer_store_dword v114, v6, s[8:11], 0 offen offset:128   // 000000012704: E0701080 80027206
	s_mov_b64 exec, s[36:37]                                   // 00000001270C: BEFE0124
	v_mov_b32_e32 v6, v81                                      // 000000012710: 7E0C0351
	s_mov_b64 s[60:61], 0                                      // 000000012714: BEBC0180
	v_readlane_b32 s82, v3, 22                                 // 000000012718: D2890052 00012D03
	s_and_b32 s82, s82, 0xffffff                               // 000000012720: 8652FF52 00FFFFFF
	s_cmp_lt_u32 s82, s66                                      // 000000012728: BF0A4252
	s_cselect_b32 s20, s36, s60                                // 00000001272C: 85143C24
	v_readlane_b32 s82, v3, 23                                 // 000000012730: D2890052 00012F03
	s_and_b32 s82, s82, 0xffffff                               // 000000012738: 8652FF52 00FFFFFF
	s_cmp_lt_u32 s82, s66                                      // 000000012740: BF0A4252
	s_cselect_b32 s21, s36, s60                                // 000000012744: 85153C24
	s_mov_b64 exec, s[20:21]                                   // 000000012748: BEFE0114
	buffer_store_dword v113, v6, s[8:11], 0 offen              // 00000001274C: E0701000 80027106
	buffer_store_dword v115, v6, s[8:11], 0 offen offset:128   // 000000012754: E0701080 80027306
	s_mov_b64 exec, s[36:37]                                   // 00000001275C: BEFE0124
	v_mov_b32_e32 v6, v82                                      // 000000012760: 7E0C0352
	s_mov_b64 s[60:61], 0                                      // 000000012764: BEBC0180
	v_readlane_b32 s82, v3, 24                                 // 000000012768: D2890052 00013103
	s_and_b32 s82, s82, 0xffffff                               // 000000012770: 8652FF52 00FFFFFF
	s_cmp_lt_u32 s82, s66                                      // 000000012778: BF0A4252
	s_cselect_b32 s20, s36, s60                                // 00000001277C: 85143C24
	v_readlane_b32 s82, v3, 25                                 // 000000012780: D2890052 00013303
	s_and_b32 s82, s82, 0xffffff                               // 000000012788: 8652FF52 00FFFFFF
	s_cmp_lt_u32 s82, s66                                      // 000000012790: BF0A4252
	s_cselect_b32 s21, s36, s60                                // 000000012794: 85153C24
	s_mov_b64 exec, s[20:21]                                   // 000000012798: BEFE0114
	buffer_store_dword v116, v6, s[8:11], 0 offen              // 00000001279C: E0701000 80027406
	buffer_store_dword v118, v6, s[8:11], 0 offen offset:128   // 0000000127A4: E0701080 80027606
	s_mov_b64 exec, s[36:37]                                   // 0000000127AC: BEFE0124
	v_mov_b32_e32 v6, v83                                      // 0000000127B0: 7E0C0353
	s_mov_b64 s[60:61], 0                                      // 0000000127B4: BEBC0180
	v_readlane_b32 s82, v3, 26                                 // 0000000127B8: D2890052 00013503
	s_and_b32 s82, s82, 0xffffff                               // 0000000127C0: 8652FF52 00FFFFFF
	s_cmp_lt_u32 s82, s66                                      // 0000000127C8: BF0A4252
	s_cselect_b32 s20, s36, s60                                // 0000000127CC: 85143C24
	v_readlane_b32 s82, v3, 27                                 // 0000000127D0: D2890052 00013703
	s_and_b32 s82, s82, 0xffffff                               // 0000000127D8: 8652FF52 00FFFFFF
	s_cmp_lt_u32 s82, s66                                      // 0000000127E0: BF0A4252
	s_cselect_b32 s21, s36, s60                                // 0000000127E4: 85153C24
	s_mov_b64 exec, s[20:21]                                   // 0000000127E8: BEFE0114
	buffer_store_dword v117, v6, s[8:11], 0 offen              // 0000000127EC: E0701000 80027506
	buffer_store_dword v119, v6, s[8:11], 0 offen offset:128   // 0000000127F4: E0701080 80027706
	s_mov_b64 exec, s[36:37]                                   // 0000000127FC: BEFE0124
	v_mov_b32_e32 v6, v84                                      // 000000012800: 7E0C0354
	s_mov_b64 s[60:61], 0                                      // 000000012804: BEBC0180
	v_readlane_b32 s82, v3, 28                                 // 000000012808: D2890052 00013903
	s_and_b32 s82, s82, 0xffffff                               // 000000012810: 8652FF52 00FFFFFF
	s_cmp_lt_u32 s82, s66                                      // 000000012818: BF0A4252
	s_cselect_b32 s20, s36, s60                                // 00000001281C: 85143C24
	v_readlane_b32 s82, v3, 29                                 // 000000012820: D2890052 00013B03
	s_and_b32 s82, s82, 0xffffff                               // 000000012828: 8652FF52 00FFFFFF
	s_cmp_lt_u32 s82, s66                                      // 000000012830: BF0A4252
	s_cselect_b32 s21, s36, s60                                // 000000012834: 85153C24
	s_mov_b64 exec, s[20:21]                                   // 000000012838: BEFE0114
	buffer_store_dword v120, v6, s[8:11], 0 offen              // 00000001283C: E0701000 80027806
	buffer_store_dword v122, v6, s[8:11], 0 offen offset:128   // 000000012844: E0701080 80027A06
	s_mov_b64 exec, s[36:37]                                   // 00000001284C: BEFE0124
	v_mov_b32_e32 v6, v85                                      // 000000012850: 7E0C0355
	s_mov_b64 s[60:61], 0                                      // 000000012854: BEBC0180
	v_readlane_b32 s82, v3, 30                                 // 000000012858: D2890052 00013D03
	s_and_b32 s82, s82, 0xffffff                               // 000000012860: 8652FF52 00FFFFFF
	s_cmp_lt_u32 s82, s66                                      // 000000012868: BF0A4252
	s_cselect_b32 s20, s36, s60                                // 00000001286C: 85143C24
	v_readlane_b32 s82, v3, 31                                 // 000000012870: D2890052 00013F03
	s_and_b32 s82, s82, 0xffffff                               // 000000012878: 8652FF52 00FFFFFF
	s_cmp_lt_u32 s82, s66                                      // 000000012880: BF0A4252
	s_cselect_b32 s21, s36, s60                                // 000000012884: 85153C24
	s_mov_b64 exec, s[20:21]                                   // 000000012888: BEFE0114
	buffer_store_dword v121, v6, s[8:11], 0 offen              // 00000001288C: E0701000 80027906
	buffer_store_dword v123, v6, s[8:11], 0 offen offset:128   // 000000012894: E0701080 80027B06
	s_mov_b64 exec, s[36:37]                                   // 00000001289C: BEFE0124
	v_mov_b32_e32 v6, v86                                      // 0000000128A0: 7E0C0356
	s_mov_b64 s[60:61], 0                                      // 0000000128A4: BEBC0180
	v_readlane_b32 s82, v3, 32                                 // 0000000128A8: D2890052 00014103
	s_and_b32 s82, s82, 0xffffff                               // 0000000128B0: 8652FF52 00FFFFFF
	s_cmp_lt_u32 s82, s66                                      // 0000000128B8: BF0A4252
	s_cselect_b32 s20, s36, s60                                // 0000000128BC: 85143C24
	v_readlane_b32 s82, v3, 33                                 // 0000000128C0: D2890052 00014303
	s_and_b32 s82, s82, 0xffffff                               // 0000000128C8: 8652FF52 00FFFFFF
	s_cmp_lt_u32 s82, s66                                      // 0000000128D0: BF0A4252
	s_cselect_b32 s21, s36, s60                                // 0000000128D4: 85153C24
	s_mov_b64 exec, s[20:21]                                   // 0000000128D8: BEFE0114
	buffer_store_dword v124, v6, s[8:11], 0 offen              // 0000000128DC: E0701000 80027C06
	buffer_store_dword v126, v6, s[8:11], 0 offen offset:128   // 0000000128E4: E0701080 80027E06
	s_mov_b64 exec, s[36:37]                                   // 0000000128EC: BEFE0124
	v_mov_b32_e32 v6, v87                                      // 0000000128F0: 7E0C0357
	s_mov_b64 s[60:61], 0                                      // 0000000128F4: BEBC0180
	v_readlane_b32 s82, v3, 34                                 // 0000000128F8: D2890052 00014503
	s_and_b32 s82, s82, 0xffffff                               // 000000012900: 8652FF52 00FFFFFF
	s_cmp_lt_u32 s82, s66                                      // 000000012908: BF0A4252
	s_cselect_b32 s20, s36, s60                                // 00000001290C: 85143C24
	v_readlane_b32 s82, v3, 35                                 // 000000012910: D2890052 00014703
	s_and_b32 s82, s82, 0xffffff                               // 000000012918: 8652FF52 00FFFFFF
	s_cmp_lt_u32 s82, s66                                      // 000000012920: BF0A4252
	s_cselect_b32 s21, s36, s60                                // 000000012924: 85153C24
	s_mov_b64 exec, s[20:21]                                   // 000000012928: BEFE0114
	buffer_store_dword v125, v6, s[8:11], 0 offen              // 00000001292C: E0701000 80027D06
	buffer_store_dword v127, v6, s[8:11], 0 offen offset:128   // 000000012934: E0701080 80027F06
	s_mov_b64 exec, s[36:37]                                   // 00000001293C: BEFE0124
	v_mov_b32_e32 v6, v88                                      // 000000012940: 7E0C0358
	s_mov_b64 s[60:61], 0                                      // 000000012944: BEBC0180
	v_readlane_b32 s82, v3, 36                                 // 000000012948: D2890052 00014903
	s_and_b32 s82, s82, 0xffffff                               // 000000012950: 8652FF52 00FFFFFF
	s_cmp_lt_u32 s82, s66                                      // 000000012958: BF0A4252
	s_cselect_b32 s20, s36, s60                                // 00000001295C: 85143C24
	v_readlane_b32 s82, v3, 37                                 // 000000012960: D2890052 00014B03
	s_and_b32 s82, s82, 0xffffff                               // 000000012968: 8652FF52 00FFFFFF
	s_cmp_lt_u32 s82, s66                                      // 000000012970: BF0A4252
	s_cselect_b32 s21, s36, s60                                // 000000012974: 85153C24
	s_mov_b64 exec, s[20:21]                                   // 000000012978: BEFE0114
	buffer_store_dword v128, v6, s[8:11], 0 offen              // 00000001297C: E0701000 80028006
	buffer_store_dword v130, v6, s[8:11], 0 offen offset:128   // 000000012984: E0701080 80028206
	s_mov_b64 exec, s[36:37]                                   // 00000001298C: BEFE0124
	v_mov_b32_e32 v6, v89                                      // 000000012990: 7E0C0359
	s_mov_b64 s[60:61], 0                                      // 000000012994: BEBC0180
	v_readlane_b32 s82, v3, 38                                 // 000000012998: D2890052 00014D03
	s_and_b32 s82, s82, 0xffffff                               // 0000000129A0: 8652FF52 00FFFFFF
	s_cmp_lt_u32 s82, s66                                      // 0000000129A8: BF0A4252
	s_cselect_b32 s20, s36, s60                                // 0000000129AC: 85143C24
	v_readlane_b32 s82, v3, 39                                 // 0000000129B0: D2890052 00014F03
	s_and_b32 s82, s82, 0xffffff                               // 0000000129B8: 8652FF52 00FFFFFF
	s_cmp_lt_u32 s82, s66                                      // 0000000129C0: BF0A4252
	s_cselect_b32 s21, s36, s60                                // 0000000129C4: 85153C24
	s_mov_b64 exec, s[20:21]                                   // 0000000129C8: BEFE0114
	buffer_store_dword v129, v6, s[8:11], 0 offen              // 0000000129CC: E0701000 80028106
	buffer_store_dword v131, v6, s[8:11], 0 offen offset:128   // 0000000129D4: E0701080 80028306
	s_mov_b64 exec, s[36:37]                                   // 0000000129DC: BEFE0124
	s_branch label_49FE                                        // 0000000129E0: BF820A02

00000000000129e4 <label_3FFC>:
	ds_write_b64 v20, v[92:93]                                 // 0000000129E4: D89A0000 00005C14
	ds_write_b64 v20, v[96:97] offset:4352                     // 0000000129EC: D89A1100 00006014
	ds_write_b64 v20, v[100:101] offset:8704                   // 0000000129F4: D89A2200 00006414
	ds_write_b64 v20, v[104:105] offset:13056                  // 0000000129FC: D89A3300 00006814
	ds_write_b64 v20, v[108:109] offset:17408                  // 000000012A04: D89A4400 00006C14
	ds_write_b64 v20, v[112:113] offset:21760                  // 000000012A0C: D89A5500 00007014
	ds_write_b64 v20, v[116:117] offset:26112                  // 000000012A14: D89A6600 00007414
	ds_write_b64 v20, v[120:121] offset:30464                  // 000000012A1C: D89A7700 00007814
	ds_write_b64 v20, v[124:125] offset:34816                  // 000000012A24: D89A8800 00007C14
	ds_write_b64 v20, v[128:129] offset:39168                  // 000000012A2C: D89A9900 00008014
	ds_write_b64 v20, v[132:133] offset:2176                   // 000000012A34: D89A0880 00008414
	ds_write_b64 v20, v[136:137] offset:6528                   // 000000012A3C: D89A1980 00008814
	ds_write_b64 v20, v[140:141] offset:10880                  // 000000012A44: D89A2A80 00008C14
	ds_write_b64 v20, v[144:145] offset:15232                  // 000000012A4C: D89A3B80 00009014
	ds_write_b64 v20, v[148:149] offset:19584                  // 000000012A54: D89A4C80 00009414
	ds_write_b64 v20, v[152:153] offset:23936                  // 000000012A5C: D89A5D80 00009814
	ds_write_b64 v20, v[156:157] offset:28288                  // 000000012A64: D89A6E80 00009C14
	ds_write_b64 v20, v[160:161] offset:32640                  // 000000012A6C: D89A7F80 0000A014
	ds_write_b64 v20, v[164:165] offset:36992                  // 000000012A74: D89A9080 0000A414
	ds_write_b64 v20, v[168:169] offset:41344                  // 000000012A7C: D89AA180 0000A814
	v_lshrrev_b32_e32 v4, 5, v0                                // 000000012A84: 20080085
	v_xor_b32_e32 v5, 1, v4                                    // 000000012A88: 2A0A0881
	s_mul_i32 s60, s65, 2                                      // 000000012A8C: 923C8241
	s_cmp_eq_u32 s88, 0                                        // 000000012A90: BF068058
	s_cselect_b32 s61, 1, 4                                    // 000000012A94: 853D8481
	s_mul_i32 s60, s61, s60                                    // 000000012A98: 923C3C3D
	v_readlane_b32 s82, v3, 0                                  // 000000012A9C: D2890052 00010103
	s_lshr_b32 s61, s82, 24                                    // 000000012AA4: 8F3D9852
	s_and_b32 s82, s82, 0xffffff                               // 000000012AA8: 8652FF52 00FFFFFF
	s_mul_i32 s82, s82, s71                                    // 000000012AB0: 92524752
	s_mul_i32 s61, s60, s61                                    // 000000012AB4: 923D3D3C
	s_add_u32 s82, s82, s61                                    // 000000012AB8: 80523D52
	v_mul_lo_u32 v6, v5, s82                                   // 000000012ABC: D2850006 0000A505
	v_readlane_b32 s82, v3, 1                                  // 000000012AC4: D2890052 00010303
	s_lshr_b32 s61, s82, 24                                    // 000000012ACC: 8F3D9852
	s_and_b32 s82, s82, 0xffffff                               // 000000012AD0: 8652FF52 00FFFFFF
	s_mul_i32 s82, s82, s71                                    // 000000012AD8: 92524752
	s_mul_i32 s61, s60, s61                                    // 000000012ADC: 923D3D3C
	s_add_u32 s82, s82, s61                                    // 000000012AE0: 80523D52
	v_mul_lo_u32 v7, v4, s82                                   // 000000012AE4: D2850007 0000A504
	v_add_u32_e32 v70, v6, v7                                  // 000000012AEC: 688C0F06
	v_readlane_b32 s82, v3, 2                                  // 000000012AF0: D2890052 00010503
	s_lshr_b32 s61, s82, 24                                    // 000000012AF8: 8F3D9852
	s_and_b32 s82, s82, 0xffffff                               // 000000012AFC: 8652FF52 00FFFFFF
	s_mul_i32 s82, s82, s71                                    // 000000012B04: 92524752
	s_mul_i32 s61, s60, s61                                    // 000000012B08: 923D3D3C
	s_add_u32 s82, s82, s61                                    // 000000012B0C: 80523D52
	v_mul_lo_u32 v6, v5, s82                                   // 000000012B10: D2850006 0000A505
	v_readlane_b32 s82, v3, 3                                  // 000000012B18: D2890052 00010703
	s_lshr_b32 s61, s82, 24                                    // 000000012B20: 8F3D9852
	s_and_b32 s82, s82, 0xffffff                               // 000000012B24: 8652FF52 00FFFFFF
	s_mul_i32 s82, s82, s71                                    // 000000012B2C: 92524752
	s_mul_i32 s61, s60, s61                                    // 000000012B30: 923D3D3C
	s_add_u32 s82, s82, s61                                    // 000000012B34: 80523D52
	v_mul_lo_u32 v7, v4, s82                                   // 000000012B38: D2850007 0000A504
	v_add_u32_e32 v71, v6, v7                                  // 000000012B40: 688E0F06
	v_readlane_b32 s82, v3, 4                                  // 000000012B44: D2890052 00010903
	s_lshr_b32 s61, s82, 24                                    // 000000012B4C: 8F3D9852
	s_and_b32 s82, s82, 0xffffff                               // 000000012B50: 8652FF52 00FFFFFF
	s_mul_i32 s82, s82, s71                                    // 000000012B58: 92524752
	s_mul_i32 s61, s60, s61                                    // 000000012B5C: 923D3D3C
	s_add_u32 s82, s82, s61                                    // 000000012B60: 80523D52
	v_mul_lo_u32 v6, v5, s82                                   // 000000012B64: D2850006 0000A505
	v_readlane_b32 s82, v3, 5                                  // 000000012B6C: D2890052 00010B03
	s_lshr_b32 s61, s82, 24                                    // 000000012B74: 8F3D9852
	s_and_b32 s82, s82, 0xffffff                               // 000000012B78: 8652FF52 00FFFFFF
	s_mul_i32 s82, s82, s71                                    // 000000012B80: 92524752
	s_mul_i32 s61, s60, s61                                    // 000000012B84: 923D3D3C
	s_add_u32 s82, s82, s61                                    // 000000012B88: 80523D52
	v_mul_lo_u32 v7, v4, s82                                   // 000000012B8C: D2850007 0000A504
	v_add_u32_e32 v72, v6, v7                                  // 000000012B94: 68900F06
	v_readlane_b32 s82, v3, 6                                  // 000000012B98: D2890052 00010D03
	s_lshr_b32 s61, s82, 24                                    // 000000012BA0: 8F3D9852
	s_and_b32 s82, s82, 0xffffff                               // 000000012BA4: 8652FF52 00FFFFFF
	s_mul_i32 s82, s82, s71                                    // 000000012BAC: 92524752
	s_mul_i32 s61, s60, s61                                    // 000000012BB0: 923D3D3C
	s_add_u32 s82, s82, s61                                    // 000000012BB4: 80523D52
	v_mul_lo_u32 v6, v5, s82                                   // 000000012BB8: D2850006 0000A505
	v_readlane_b32 s82, v3, 7                                  // 000000012BC0: D2890052 00010F03
	s_lshr_b32 s61, s82, 24                                    // 000000012BC8: 8F3D9852
	s_and_b32 s82, s82, 0xffffff                               // 000000012BCC: 8652FF52 00FFFFFF
	s_mul_i32 s82, s82, s71                                    // 000000012BD4: 92524752
	s_mul_i32 s61, s60, s61                                    // 000000012BD8: 923D3D3C
	s_add_u32 s82, s82, s61                                    // 000000012BDC: 80523D52
	v_mul_lo_u32 v7, v4, s82                                   // 000000012BE0: D2850007 0000A504
	v_add_u32_e32 v73, v6, v7                                  // 000000012BE8: 68920F06
	v_readlane_b32 s82, v3, 8                                  // 000000012BEC: D2890052 00011103
	s_lshr_b32 s61, s82, 24                                    // 000000012BF4: 8F3D9852
	s_and_b32 s82, s82, 0xffffff                               // 000000012BF8: 8652FF52 00FFFFFF
	s_mul_i32 s82, s82, s71                                    // 000000012C00: 92524752
	s_mul_i32 s61, s60, s61                                    // 000000012C04: 923D3D3C
	s_add_u32 s82, s82, s61                                    // 000000012C08: 80523D52
	v_mul_lo_u32 v6, v5, s82                                   // 000000012C0C: D2850006 0000A505
	v_readlane_b32 s82, v3, 9                                  // 000000012C14: D2890052 00011303
	s_lshr_b32 s61, s82, 24                                    // 000000012C1C: 8F3D9852
	s_and_b32 s82, s82, 0xffffff                               // 000000012C20: 8652FF52 00FFFFFF
	s_mul_i32 s82, s82, s71                                    // 000000012C28: 92524752
	s_mul_i32 s61, s60, s61                                    // 000000012C2C: 923D3D3C
	s_add_u32 s82, s82, s61                                    // 000000012C30: 80523D52
	v_mul_lo_u32 v7, v4, s82                                   // 000000012C34: D2850007 0000A504
	v_add_u32_e32 v74, v6, v7                                  // 000000012C3C: 68940F06
	v_readlane_b32 s82, v3, 10                                 // 000000012C40: D2890052 00011503
	s_lshr_b32 s61, s82, 24                                    // 000000012C48: 8F3D9852
	s_and_b32 s82, s82, 0xffffff                               // 000000012C4C: 8652FF52 00FFFFFF
	s_mul_i32 s82, s82, s71                                    // 000000012C54: 92524752
	s_mul_i32 s61, s60, s61                                    // 000000012C58: 923D3D3C
	s_add_u32 s82, s82, s61                                    // 000000012C5C: 80523D52
	v_mul_lo_u32 v6, v5, s82                                   // 000000012C60: D2850006 0000A505
	v_readlane_b32 s82, v3, 11                                 // 000000012C68: D2890052 00011703
	s_lshr_b32 s61, s82, 24                                    // 000000012C70: 8F3D9852
	s_and_b32 s82, s82, 0xffffff                               // 000000012C74: 8652FF52 00FFFFFF
	s_mul_i32 s82, s82, s71                                    // 000000012C7C: 92524752
	s_mul_i32 s61, s60, s61                                    // 000000012C80: 923D3D3C
	s_add_u32 s82, s82, s61                                    // 000000012C84: 80523D52
	v_mul_lo_u32 v7, v4, s82                                   // 000000012C88: D2850007 0000A504
	v_add_u32_e32 v75, v6, v7                                  // 000000012C90: 68960F06
	v_readlane_b32 s82, v3, 12                                 // 000000012C94: D2890052 00011903
	s_lshr_b32 s61, s82, 24                                    // 000000012C9C: 8F3D9852
	s_and_b32 s82, s82, 0xffffff                               // 000000012CA0: 8652FF52 00FFFFFF
	s_mul_i32 s82, s82, s71                                    // 000000012CA8: 92524752
	s_mul_i32 s61, s60, s61                                    // 000000012CAC: 923D3D3C
	s_add_u32 s82, s82, s61                                    // 000000012CB0: 80523D52
	v_mul_lo_u32 v6, v5, s82                                   // 000000012CB4: D2850006 0000A505
	v_readlane_b32 s82, v3, 13                                 // 000000012CBC: D2890052 00011B03
	s_lshr_b32 s61, s82, 24                                    // 000000012CC4: 8F3D9852
	s_and_b32 s82, s82, 0xffffff                               // 000000012CC8: 8652FF52 00FFFFFF
	s_mul_i32 s82, s82, s71                                    // 000000012CD0: 92524752
	s_mul_i32 s61, s60, s61                                    // 000000012CD4: 923D3D3C
	s_add_u32 s82, s82, s61                                    // 000000012CD8: 80523D52
	v_mul_lo_u32 v7, v4, s82                                   // 000000012CDC: D2850007 0000A504
	v_add_u32_e32 v76, v6, v7                                  // 000000012CE4: 68980F06
	v_readlane_b32 s82, v3, 14                                 // 000000012CE8: D2890052 00011D03
	s_lshr_b32 s61, s82, 24                                    // 000000012CF0: 8F3D9852
	s_and_b32 s82, s82, 0xffffff                               // 000000012CF4: 8652FF52 00FFFFFF
	s_mul_i32 s82, s82, s71                                    // 000000012CFC: 92524752
	s_mul_i32 s61, s60, s61                                    // 000000012D00: 923D3D3C
	s_add_u32 s82, s82, s61                                    // 000000012D04: 80523D52
	v_mul_lo_u32 v6, v5, s82                                   // 000000012D08: D2850006 0000A505
	v_readlane_b32 s82, v3, 15                                 // 000000012D10: D2890052 00011F03
	s_lshr_b32 s61, s82, 24                                    // 000000012D18: 8F3D9852
	s_and_b32 s82, s82, 0xffffff                               // 000000012D1C: 8652FF52 00FFFFFF
	s_mul_i32 s82, s82, s71                                    // 000000012D24: 92524752
	s_mul_i32 s61, s60, s61                                    // 000000012D28: 923D3D3C
	s_add_u32 s82, s82, s61                                    // 000000012D2C: 80523D52
	v_mul_lo_u32 v7, v4, s82                                   // 000000012D30: D2850007 0000A504
	v_add_u32_e32 v77, v6, v7                                  // 000000012D38: 689A0F06
	v_readlane_b32 s82, v3, 16                                 // 000000012D3C: D2890052 00012103
	s_lshr_b32 s61, s82, 24                                    // 000000012D44: 8F3D9852
	s_and_b32 s82, s82, 0xffffff                               // 000000012D48: 8652FF52 00FFFFFF
	s_mul_i32 s82, s82, s71                                    // 000000012D50: 92524752
	s_mul_i32 s61, s60, s61                                    // 000000012D54: 923D3D3C
	s_add_u32 s82, s82, s61                                    // 000000012D58: 80523D52
	v_mul_lo_u32 v6, v5, s82                                   // 000000012D5C: D2850006 0000A505
	v_readlane_b32 s82, v3, 17                                 // 000000012D64: D2890052 00012303
	s_lshr_b32 s61, s82, 24                                    // 000000012D6C: 8F3D9852
	s_and_b32 s82, s82, 0xffffff                               // 000000012D70: 8652FF52 00FFFFFF
	s_mul_i32 s82, s82, s71                                    // 000000012D78: 92524752
	s_mul_i32 s61, s60, s61                                    // 000000012D7C: 923D3D3C
	s_add_u32 s82, s82, s61                                    // 000000012D80: 80523D52
	v_mul_lo_u32 v7, v4, s82                                   // 000000012D84: D2850007 0000A504
	v_add_u32_e32 v78, v6, v7                                  // 000000012D8C: 689C0F06
	v_readlane_b32 s82, v3, 18                                 // 000000012D90: D2890052 00012503
	s_lshr_b32 s61, s82, 24                                    // 000000012D98: 8F3D9852
	s_and_b32 s82, s82, 0xffffff                               // 000000012D9C: 8652FF52 00FFFFFF
	s_mul_i32 s82, s82, s71                                    // 000000012DA4: 92524752
	s_mul_i32 s61, s60, s61                                    // 000000012DA8: 923D3D3C
	s_add_u32 s82, s82, s61                                    // 000000012DAC: 80523D52
	v_mul_lo_u32 v6, v5, s82                                   // 000000012DB0: D2850006 0000A505
	v_readlane_b32 s82, v3, 19                                 // 000000012DB8: D2890052 00012703
	s_lshr_b32 s61, s82, 24                                    // 000000012DC0: 8F3D9852
	s_and_b32 s82, s82, 0xffffff                               // 000000012DC4: 8652FF52 00FFFFFF
	s_mul_i32 s82, s82, s71                                    // 000000012DCC: 92524752
	s_mul_i32 s61, s60, s61                                    // 000000012DD0: 923D3D3C
	s_add_u32 s82, s82, s61                                    // 000000012DD4: 80523D52
	v_mul_lo_u32 v7, v4, s82                                   // 000000012DD8: D2850007 0000A504
	v_add_u32_e32 v79, v6, v7                                  // 000000012DE0: 689E0F06
	v_readlane_b32 s82, v3, 20                                 // 000000012DE4: D2890052 00012903
	s_lshr_b32 s61, s82, 24                                    // 000000012DEC: 8F3D9852
	s_and_b32 s82, s82, 0xffffff                               // 000000012DF0: 8652FF52 00FFFFFF
	s_mul_i32 s82, s82, s71                                    // 000000012DF8: 92524752
	s_mul_i32 s61, s60, s61                                    // 000000012DFC: 923D3D3C
	s_add_u32 s82, s82, s61                                    // 000000012E00: 80523D52
	v_mul_lo_u32 v6, v5, s82                                   // 000000012E04: D2850006 0000A505
	v_readlane_b32 s82, v3, 21                                 // 000000012E0C: D2890052 00012B03
	s_lshr_b32 s61, s82, 24                                    // 000000012E14: 8F3D9852
	s_and_b32 s82, s82, 0xffffff                               // 000000012E18: 8652FF52 00FFFFFF
	s_mul_i32 s82, s82, s71                                    // 000000012E20: 92524752
	s_mul_i32 s61, s60, s61                                    // 000000012E24: 923D3D3C
	s_add_u32 s82, s82, s61                                    // 000000012E28: 80523D52
	v_mul_lo_u32 v7, v4, s82                                   // 000000012E2C: D2850007 0000A504
	v_add_u32_e32 v80, v6, v7                                  // 000000012E34: 68A00F06
	v_readlane_b32 s82, v3, 22                                 // 000000012E38: D2890052 00012D03
	s_lshr_b32 s61, s82, 24                                    // 000000012E40: 8F3D9852
	s_and_b32 s82, s82, 0xffffff                               // 000000012E44: 8652FF52 00FFFFFF
	s_mul_i32 s82, s82, s71                                    // 000000012E4C: 92524752
	s_mul_i32 s61, s60, s61                                    // 000000012E50: 923D3D3C
	s_add_u32 s82, s82, s61                                    // 000000012E54: 80523D52
	v_mul_lo_u32 v6, v5, s82                                   // 000000012E58: D2850006 0000A505
	v_readlane_b32 s82, v3, 23                                 // 000000012E60: D2890052 00012F03
	s_lshr_b32 s61, s82, 24                                    // 000000012E68: 8F3D9852
	s_and_b32 s82, s82, 0xffffff                               // 000000012E6C: 8652FF52 00FFFFFF
	s_mul_i32 s82, s82, s71                                    // 000000012E74: 92524752
	s_mul_i32 s61, s60, s61                                    // 000000012E78: 923D3D3C
	s_add_u32 s82, s82, s61                                    // 000000012E7C: 80523D52
	v_mul_lo_u32 v7, v4, s82                                   // 000000012E80: D2850007 0000A504
	v_add_u32_e32 v81, v6, v7                                  // 000000012E88: 68A20F06
	v_readlane_b32 s82, v3, 24                                 // 000000012E8C: D2890052 00013103
	s_lshr_b32 s61, s82, 24                                    // 000000012E94: 8F3D9852
	s_and_b32 s82, s82, 0xffffff                               // 000000012E98: 8652FF52 00FFFFFF
	s_mul_i32 s82, s82, s71                                    // 000000012EA0: 92524752
	s_mul_i32 s61, s60, s61                                    // 000000012EA4: 923D3D3C
	s_add_u32 s82, s82, s61                                    // 000000012EA8: 80523D52
	v_mul_lo_u32 v6, v5, s82                                   // 000000012EAC: D2850006 0000A505
	v_readlane_b32 s82, v3, 25                                 // 000000012EB4: D2890052 00013303
	s_lshr_b32 s61, s82, 24                                    // 000000012EBC: 8F3D9852
	s_and_b32 s82, s82, 0xffffff                               // 000000012EC0: 8652FF52 00FFFFFF
	s_mul_i32 s82, s82, s71                                    // 000000012EC8: 92524752
	s_mul_i32 s61, s60, s61                                    // 000000012ECC: 923D3D3C
	s_add_u32 s82, s82, s61                                    // 000000012ED0: 80523D52
	v_mul_lo_u32 v7, v4, s82                                   // 000000012ED4: D2850007 0000A504
	v_add_u32_e32 v82, v6, v7                                  // 000000012EDC: 68A40F06
	v_readlane_b32 s82, v3, 26                                 // 000000012EE0: D2890052 00013503
	s_lshr_b32 s61, s82, 24                                    // 000000012EE8: 8F3D9852
	s_and_b32 s82, s82, 0xffffff                               // 000000012EEC: 8652FF52 00FFFFFF
	s_mul_i32 s82, s82, s71                                    // 000000012EF4: 92524752
	s_mul_i32 s61, s60, s61                                    // 000000012EF8: 923D3D3C
	s_add_u32 s82, s82, s61                                    // 000000012EFC: 80523D52
	v_mul_lo_u32 v6, v5, s82                                   // 000000012F00: D2850006 0000A505
	v_readlane_b32 s82, v3, 27                                 // 000000012F08: D2890052 00013703
	s_lshr_b32 s61, s82, 24                                    // 000000012F10: 8F3D9852
	s_and_b32 s82, s82, 0xffffff                               // 000000012F14: 8652FF52 00FFFFFF
	s_mul_i32 s82, s82, s71                                    // 000000012F1C: 92524752
	s_mul_i32 s61, s60, s61                                    // 000000012F20: 923D3D3C
	s_add_u32 s82, s82, s61                                    // 000000012F24: 80523D52
	v_mul_lo_u32 v7, v4, s82                                   // 000000012F28: D2850007 0000A504
	v_add_u32_e32 v83, v6, v7                                  // 000000012F30: 68A60F06
	v_readlane_b32 s82, v3, 28                                 // 000000012F34: D2890052 00013903
	s_lshr_b32 s61, s82, 24                                    // 000000012F3C: 8F3D9852
	s_and_b32 s82, s82, 0xffffff                               // 000000012F40: 8652FF52 00FFFFFF
	s_mul_i32 s82, s82, s71                                    // 000000012F48: 92524752
	s_mul_i32 s61, s60, s61                                    // 000000012F4C: 923D3D3C
	s_add_u32 s82, s82, s61                                    // 000000012F50: 80523D52
	v_mul_lo_u32 v6, v5, s82                                   // 000000012F54: D2850006 0000A505
	v_readlane_b32 s82, v3, 29                                 // 000000012F5C: D2890052 00013B03
	s_lshr_b32 s61, s82, 24                                    // 000000012F64: 8F3D9852
	s_and_b32 s82, s82, 0xffffff                               // 000000012F68: 8652FF52 00FFFFFF
	s_mul_i32 s82, s82, s71                                    // 000000012F70: 92524752
	s_mul_i32 s61, s60, s61                                    // 000000012F74: 923D3D3C
	s_add_u32 s82, s82, s61                                    // 000000012F78: 80523D52
	v_mul_lo_u32 v7, v4, s82                                   // 000000012F7C: D2850007 0000A504
	v_add_u32_e32 v84, v6, v7                                  // 000000012F84: 68A80F06
	v_readlane_b32 s82, v3, 30                                 // 000000012F88: D2890052 00013D03
	s_lshr_b32 s61, s82, 24                                    // 000000012F90: 8F3D9852
	s_and_b32 s82, s82, 0xffffff                               // 000000012F94: 8652FF52 00FFFFFF
	s_mul_i32 s82, s82, s71                                    // 000000012F9C: 92524752
	s_mul_i32 s61, s60, s61                                    // 000000012FA0: 923D3D3C
	s_add_u32 s82, s82, s61                                    // 000000012FA4: 80523D52
	v_mul_lo_u32 v6, v5, s82                                   // 000000012FA8: D2850006 0000A505
	v_readlane_b32 s82, v3, 31                                 // 000000012FB0: D2890052 00013F03
	s_lshr_b32 s61, s82, 24                                    // 000000012FB8: 8F3D9852
	s_and_b32 s82, s82, 0xffffff                               // 000000012FBC: 8652FF52 00FFFFFF
	s_mul_i32 s82, s82, s71                                    // 000000012FC4: 92524752
	s_mul_i32 s61, s60, s61                                    // 000000012FC8: 923D3D3C
	s_add_u32 s82, s82, s61                                    // 000000012FCC: 80523D52
	v_mul_lo_u32 v7, v4, s82                                   // 000000012FD0: D2850007 0000A504
	v_add_u32_e32 v85, v6, v7                                  // 000000012FD8: 68AA0F06
	v_readlane_b32 s82, v3, 32                                 // 000000012FDC: D2890052 00014103
	s_lshr_b32 s61, s82, 24                                    // 000000012FE4: 8F3D9852
	s_and_b32 s82, s82, 0xffffff                               // 000000012FE8: 8652FF52 00FFFFFF
	s_mul_i32 s82, s82, s71                                    // 000000012FF0: 92524752
	s_mul_i32 s61, s60, s61                                    // 000000012FF4: 923D3D3C
	s_add_u32 s82, s82, s61                                    // 000000012FF8: 80523D52
	v_mul_lo_u32 v6, v5, s82                                   // 000000012FFC: D2850006 0000A505
	v_readlane_b32 s82, v3, 33                                 // 000000013004: D2890052 00014303
	s_lshr_b32 s61, s82, 24                                    // 00000001300C: 8F3D9852
	s_and_b32 s82, s82, 0xffffff                               // 000000013010: 8652FF52 00FFFFFF
	s_mul_i32 s82, s82, s71                                    // 000000013018: 92524752
	s_mul_i32 s61, s60, s61                                    // 00000001301C: 923D3D3C
	s_add_u32 s82, s82, s61                                    // 000000013020: 80523D52
	v_mul_lo_u32 v7, v4, s82                                   // 000000013024: D2850007 0000A504
	v_add_u32_e32 v86, v6, v7                                  // 00000001302C: 68AC0F06
	v_readlane_b32 s82, v3, 34                                 // 000000013030: D2890052 00014503
	s_lshr_b32 s61, s82, 24                                    // 000000013038: 8F3D9852
	s_and_b32 s82, s82, 0xffffff                               // 00000001303C: 8652FF52 00FFFFFF
	s_mul_i32 s82, s82, s71                                    // 000000013044: 92524752
	s_mul_i32 s61, s60, s61                                    // 000000013048: 923D3D3C
	s_add_u32 s82, s82, s61                                    // 00000001304C: 80523D52
	v_mul_lo_u32 v6, v5, s82                                   // 000000013050: D2850006 0000A505
	v_readlane_b32 s82, v3, 35                                 // 000000013058: D2890052 00014703
	s_lshr_b32 s61, s82, 24                                    // 000000013060: 8F3D9852
	s_and_b32 s82, s82, 0xffffff                               // 000000013064: 8652FF52 00FFFFFF
	s_mul_i32 s82, s82, s71                                    // 00000001306C: 92524752
	s_mul_i32 s61, s60, s61                                    // 000000013070: 923D3D3C
	s_add_u32 s82, s82, s61                                    // 000000013074: 80523D52
	v_mul_lo_u32 v7, v4, s82                                   // 000000013078: D2850007 0000A504
	v_add_u32_e32 v87, v6, v7                                  // 000000013080: 68AE0F06
	v_readlane_b32 s82, v3, 36                                 // 000000013084: D2890052 00014903
	s_lshr_b32 s61, s82, 24                                    // 00000001308C: 8F3D9852
	s_and_b32 s82, s82, 0xffffff                               // 000000013090: 8652FF52 00FFFFFF
	s_mul_i32 s82, s82, s71                                    // 000000013098: 92524752
	s_mul_i32 s61, s60, s61                                    // 00000001309C: 923D3D3C
	s_add_u32 s82, s82, s61                                    // 0000000130A0: 80523D52
	v_mul_lo_u32 v6, v5, s82                                   // 0000000130A4: D2850006 0000A505
	v_readlane_b32 s82, v3, 37                                 // 0000000130AC: D2890052 00014B03
	s_lshr_b32 s61, s82, 24                                    // 0000000130B4: 8F3D9852
	s_and_b32 s82, s82, 0xffffff                               // 0000000130B8: 8652FF52 00FFFFFF
	s_mul_i32 s82, s82, s71                                    // 0000000130C0: 92524752
	s_mul_i32 s61, s60, s61                                    // 0000000130C4: 923D3D3C
	s_add_u32 s82, s82, s61                                    // 0000000130C8: 80523D52
	v_mul_lo_u32 v7, v4, s82                                   // 0000000130CC: D2850007 0000A504
	v_add_u32_e32 v88, v6, v7                                  // 0000000130D4: 68B00F06
	v_readlane_b32 s82, v3, 38                                 // 0000000130D8: D2890052 00014D03
	s_lshr_b32 s61, s82, 24                                    // 0000000130E0: 8F3D9852
	s_and_b32 s82, s82, 0xffffff                               // 0000000130E4: 8652FF52 00FFFFFF
	s_mul_i32 s82, s82, s71                                    // 0000000130EC: 92524752
	s_mul_i32 s61, s60, s61                                    // 0000000130F0: 923D3D3C
	s_add_u32 s82, s82, s61                                    // 0000000130F4: 80523D52
	v_mul_lo_u32 v6, v5, s82                                   // 0000000130F8: D2850006 0000A505
	v_readlane_b32 s82, v3, 39                                 // 000000013100: D2890052 00014F03
	s_lshr_b32 s61, s82, 24                                    // 000000013108: 8F3D9852
	s_and_b32 s82, s82, 0xffffff                               // 00000001310C: 8652FF52 00FFFFFF
	s_mul_i32 s82, s82, s71                                    // 000000013114: 92524752
	s_mul_i32 s61, s60, s61                                    // 000000013118: 923D3D3C
	s_add_u32 s82, s82, s61                                    // 00000001311C: 80523D52
	v_mul_lo_u32 v7, v4, s82                                   // 000000013120: D2850007 0000A504
	v_add_u32_e32 v89, v6, v7                                  // 000000013128: 68B20F06
	v_and_b32_e32 v4, 31, v0                                   // 00000001312C: 2608009F
	v_lshrrev_b32_e32 v4, 1, v4                                // 000000013130: 20080881
	s_cmp_eq_u32 s88, 0                                        // 000000013134: BF068058
	s_cselect_b32 s61, 2, 4                                    // 000000013138: 853D8482
	v_mul_lo_u32 v4, v4, s61                                   // 00000001313C: D2850004 00007B04
	v_and_b32_e64 v5, v0, 1                                    // 000000013144: D1130005 00010300
	v_add_u32_e32 v4, v4, v5                                   // 00000001314C: 68080B04
	v_lshlrev_b32_e32 v4, 2, v4                                // 000000013150: 24080882
	v_add_u32_e32 v70, v70, v4                                 // 000000013154: 688C0946
	v_add_u32_e32 v71, v71, v4                                 // 000000013158: 688E0947
	v_add_u32_e32 v72, v72, v4                                 // 00000001315C: 68900948
	v_add_u32_e32 v73, v73, v4                                 // 000000013160: 68920949
	v_add_u32_e32 v74, v74, v4                                 // 000000013164: 6894094A
	v_add_u32_e32 v75, v75, v4                                 // 000000013168: 6896094B
	v_add_u32_e32 v76, v76, v4                                 // 00000001316C: 6898094C
	v_add_u32_e32 v77, v77, v4                                 // 000000013170: 689A094D
	v_add_u32_e32 v78, v78, v4                                 // 000000013174: 689C094E
	v_add_u32_e32 v79, v79, v4                                 // 000000013178: 689E094F
	v_add_u32_e32 v80, v80, v4                                 // 00000001317C: 68A00950
	v_add_u32_e32 v81, v81, v4                                 // 000000013180: 68A20951
	v_add_u32_e32 v82, v82, v4                                 // 000000013184: 68A40952
	v_add_u32_e32 v83, v83, v4                                 // 000000013188: 68A60953
	v_add_u32_e32 v84, v84, v4                                 // 00000001318C: 68A80954
	v_add_u32_e32 v85, v85, v4                                 // 000000013190: 68AA0955
	v_add_u32_e32 v86, v86, v4                                 // 000000013194: 68AC0956
	v_add_u32_e32 v87, v87, v4                                 // 000000013198: 68AE0957
	v_add_u32_e32 v88, v88, v4                                 // 00000001319C: 68B00958
	v_add_u32_e32 v89, v89, v4                                 // 0000000131A0: 68B20959
	s_waitcnt lgkmcnt(0)                                       // 0000000131A4: BF8CC07F
	s_barrier                                                  // 0000000131A8: BF8A0000
	ds_read_b32 v92, v21                                       // 0000000131AC: D86C0000 5C000015
	ds_read_b32 v93, v21 offset:64                             // 0000000131B4: D86C0040 5D000015
	ds_read_b32 v96, v21 offset:2176                           // 0000000131BC: D86C0880 60000015
	ds_read_b32 v97, v21 offset:2240                           // 0000000131C4: D86C08C0 61000015
	ds_read_b32 v100, v21 offset:4352                          // 0000000131CC: D86C1100 64000015
	ds_read_b32 v101, v21 offset:4416                          // 0000000131D4: D86C1140 65000015
	ds_read_b32 v104, v21 offset:6528                          // 0000000131DC: D86C1980 68000015
	ds_read_b32 v105, v21 offset:6592                          // 0000000131E4: D86C19C0 69000015
	ds_read_b32 v108, v21 offset:8704                          // 0000000131EC: D86C2200 6C000015
	ds_read_b32 v109, v21 offset:8768                          // 0000000131F4: D86C2240 6D000015
	ds_read_b32 v112, v21 offset:10880                         // 0000000131FC: D86C2A80 70000015
	ds_read_b32 v113, v21 offset:10944                         // 000000013204: D86C2AC0 71000015
	ds_read_b32 v116, v21 offset:13056                         // 00000001320C: D86C3300 74000015
	ds_read_b32 v117, v21 offset:13120                         // 000000013214: D86C3340 75000015
	ds_read_b32 v120, v21 offset:15232                         // 00000001321C: D86C3B80 78000015
	ds_read_b32 v121, v21 offset:15296                         // 000000013224: D86C3BC0 79000015
	ds_read_b32 v124, v21 offset:17408                         // 00000001322C: D86C4400 7C000015
	ds_read_b32 v125, v21 offset:17472                         // 000000013234: D86C4440 7D000015
	ds_read_b32 v128, v21 offset:19584                         // 00000001323C: D86C4C80 80000015
	ds_read_b32 v129, v21 offset:19648                         // 000000013244: D86C4CC0 81000015
	ds_read_b32 v132, v21 offset:21760                         // 00000001324C: D86C5500 84000015
	ds_read_b32 v133, v21 offset:21824                         // 000000013254: D86C5540 85000015
	ds_read_b32 v136, v21 offset:23936                         // 00000001325C: D86C5D80 88000015
	ds_read_b32 v137, v21 offset:24000                         // 000000013264: D86C5DC0 89000015
	ds_read_b32 v140, v21 offset:26112                         // 00000001326C: D86C6600 8C000015
	ds_read_b32 v141, v21 offset:26176                         // 000000013274: D86C6640 8D000015
	ds_read_b32 v144, v21 offset:28288                         // 00000001327C: D86C6E80 90000015
	ds_read_b32 v145, v21 offset:28352                         // 000000013284: D86C6EC0 91000015
	ds_read_b32 v148, v21 offset:30464                         // 00000001328C: D86C7700 94000015
	ds_read_b32 v149, v21 offset:30528                         // 000000013294: D86C7740 95000015
	ds_read_b32 v152, v21 offset:32640                         // 00000001329C: D86C7F80 98000015
	ds_read_b32 v153, v21 offset:32704                         // 0000000132A4: D86C7FC0 99000015
	ds_read_b32 v156, v21 offset:34816                         // 0000000132AC: D86C8800 9C000015
	ds_read_b32 v157, v21 offset:34880                         // 0000000132B4: D86C8840 9D000015
	ds_read_b32 v160, v21 offset:36992                         // 0000000132BC: D86C9080 A0000015
	ds_read_b32 v161, v21 offset:37056                         // 0000000132C4: D86C90C0 A1000015
	ds_read_b32 v164, v21 offset:39168                         // 0000000132CC: D86C9900 A4000015
	ds_read_b32 v165, v21 offset:39232                         // 0000000132D4: D86C9940 A5000015
	ds_read_b32 v168, v21 offset:41344                         // 0000000132DC: D86CA180 A8000015
	ds_read_b32 v169, v21 offset:41408                         // 0000000132E4: D86CA1C0 A9000015
	s_waitcnt lgkmcnt(0)                                       // 0000000132EC: BF8CC07F
	s_mov_b32 s36, -1                                          // 0000000132F0: BEA400C1
	s_mov_b32 s37, -1                                          // 0000000132F4: BEA500C1
	v_mov_b32_e32 v7, 0                                        // 0000000132F8: 7E0E0280
	s_mov_b64 exec, s[36:37]                                   // 0000000132FC: BEFE0124
	v_mov_b32_e32 v6, v70                                      // 000000013300: 7E0C0346
	s_mov_b64 s[60:61], 0                                      // 000000013304: BEBC0180
	v_readlane_b32 s82, v3, 0                                  // 000000013308: D2890052 00010103
	s_and_b32 s82, s82, 0xffffff                               // 000000013310: 8652FF52 00FFFFFF
	s_cmp_lt_u32 s82, s66                                      // 000000013318: BF0A4252
	s_cselect_b32 s20, s36, s60                                // 00000001331C: 85143C24
	v_readlane_b32 s82, v3, 1                                  // 000000013320: D2890052 00010303
	s_and_b32 s82, s82, 0xffffff                               // 000000013328: 8652FF52 00FFFFFF
	s_cmp_lt_u32 s82, s66                                      // 000000013330: BF0A4252
	s_cselect_b32 s21, s36, s60                                // 000000013334: 85153C24
	s_mov_b64 exec, s[20:21]                                   // 000000013338: BEFE0114
	global_atomic_add_f32 v6, v92, s[8:9]                      // 00000001333C: DD348000 00085C06
	global_atomic_add_f32 v6, v96, s[8:9] offset:256           // 000000013344: DD348100 00086006
	s_mov_b64 exec, s[36:37]                                   // 00000001334C: BEFE0124
	v_mov_b32_e32 v6, v71                                      // 000000013350: 7E0C0347
	s_mov_b64 s[60:61], 0                                      // 000000013354: BEBC0180
	v_readlane_b32 s82, v3, 2                                  // 000000013358: D2890052 00010503
	s_and_b32 s82, s82, 0xffffff                               // 000000013360: 8652FF52 00FFFFFF
	s_cmp_lt_u32 s82, s66                                      // 000000013368: BF0A4252
	s_cselect_b32 s20, s36, s60                                // 00000001336C: 85143C24
	v_readlane_b32 s82, v3, 3                                  // 000000013370: D2890052 00010703
	s_and_b32 s82, s82, 0xffffff                               // 000000013378: 8652FF52 00FFFFFF
	s_cmp_lt_u32 s82, s66                                      // 000000013380: BF0A4252
	s_cselect_b32 s21, s36, s60                                // 000000013384: 85153C24
	s_mov_b64 exec, s[20:21]                                   // 000000013388: BEFE0114
	global_atomic_add_f32 v6, v93, s[8:9]                      // 00000001338C: DD348000 00085D06
	global_atomic_add_f32 v6, v97, s[8:9] offset:256           // 000000013394: DD348100 00086106
	s_mov_b64 exec, s[36:37]                                   // 00000001339C: BEFE0124
	v_mov_b32_e32 v6, v72                                      // 0000000133A0: 7E0C0348
	s_mov_b64 s[60:61], 0                                      // 0000000133A4: BEBC0180
	v_readlane_b32 s82, v3, 4                                  // 0000000133A8: D2890052 00010903
	s_and_b32 s82, s82, 0xffffff                               // 0000000133B0: 8652FF52 00FFFFFF
	s_cmp_lt_u32 s82, s66                                      // 0000000133B8: BF0A4252
	s_cselect_b32 s20, s36, s60                                // 0000000133BC: 85143C24
	v_readlane_b32 s82, v3, 5                                  // 0000000133C0: D2890052 00010B03
	s_and_b32 s82, s82, 0xffffff                               // 0000000133C8: 8652FF52 00FFFFFF
	s_cmp_lt_u32 s82, s66                                      // 0000000133D0: BF0A4252
	s_cselect_b32 s21, s36, s60                                // 0000000133D4: 85153C24
	s_mov_b64 exec, s[20:21]                                   // 0000000133D8: BEFE0114
	global_atomic_add_f32 v6, v100, s[8:9]                     // 0000000133DC: DD348000 00086406
	global_atomic_add_f32 v6, v104, s[8:9] offset:256          // 0000000133E4: DD348100 00086806
	s_mov_b64 exec, s[36:37]                                   // 0000000133EC: BEFE0124
	v_mov_b32_e32 v6, v73                                      // 0000000133F0: 7E0C0349
	s_mov_b64 s[60:61], 0                                      // 0000000133F4: BEBC0180
	v_readlane_b32 s82, v3, 6                                  // 0000000133F8: D2890052 00010D03
	s_and_b32 s82, s82, 0xffffff                               // 000000013400: 8652FF52 00FFFFFF
	s_cmp_lt_u32 s82, s66                                      // 000000013408: BF0A4252
	s_cselect_b32 s20, s36, s60                                // 00000001340C: 85143C24
	v_readlane_b32 s82, v3, 7                                  // 000000013410: D2890052 00010F03
	s_and_b32 s82, s82, 0xffffff                               // 000000013418: 8652FF52 00FFFFFF
	s_cmp_lt_u32 s82, s66                                      // 000000013420: BF0A4252
	s_cselect_b32 s21, s36, s60                                // 000000013424: 85153C24
	s_mov_b64 exec, s[20:21]                                   // 000000013428: BEFE0114
	global_atomic_add_f32 v6, v101, s[8:9]                     // 00000001342C: DD348000 00086506
	global_atomic_add_f32 v6, v105, s[8:9] offset:256          // 000000013434: DD348100 00086906
	s_mov_b64 exec, s[36:37]                                   // 00000001343C: BEFE0124
	v_mov_b32_e32 v6, v74                                      // 000000013440: 7E0C034A
	s_mov_b64 s[60:61], 0                                      // 000000013444: BEBC0180
	v_readlane_b32 s82, v3, 8                                  // 000000013448: D2890052 00011103
	s_and_b32 s82, s82, 0xffffff                               // 000000013450: 8652FF52 00FFFFFF
	s_cmp_lt_u32 s82, s66                                      // 000000013458: BF0A4252
	s_cselect_b32 s20, s36, s60                                // 00000001345C: 85143C24
	v_readlane_b32 s82, v3, 9                                  // 000000013460: D2890052 00011303
	s_and_b32 s82, s82, 0xffffff                               // 000000013468: 8652FF52 00FFFFFF
	s_cmp_lt_u32 s82, s66                                      // 000000013470: BF0A4252
	s_cselect_b32 s21, s36, s60                                // 000000013474: 85153C24
	s_mov_b64 exec, s[20:21]                                   // 000000013478: BEFE0114
	global_atomic_add_f32 v6, v108, s[8:9]                     // 00000001347C: DD348000 00086C06
	global_atomic_add_f32 v6, v112, s[8:9] offset:256          // 000000013484: DD348100 00087006
	s_mov_b64 exec, s[36:37]                                   // 00000001348C: BEFE0124
	v_mov_b32_e32 v6, v75                                      // 000000013490: 7E0C034B
	s_mov_b64 s[60:61], 0                                      // 000000013494: BEBC0180
	v_readlane_b32 s82, v3, 10                                 // 000000013498: D2890052 00011503
	s_and_b32 s82, s82, 0xffffff                               // 0000000134A0: 8652FF52 00FFFFFF
	s_cmp_lt_u32 s82, s66                                      // 0000000134A8: BF0A4252
	s_cselect_b32 s20, s36, s60                                // 0000000134AC: 85143C24
	v_readlane_b32 s82, v3, 11                                 // 0000000134B0: D2890052 00011703
	s_and_b32 s82, s82, 0xffffff                               // 0000000134B8: 8652FF52 00FFFFFF
	s_cmp_lt_u32 s82, s66                                      // 0000000134C0: BF0A4252
	s_cselect_b32 s21, s36, s60                                // 0000000134C4: 85153C24
	s_mov_b64 exec, s[20:21]                                   // 0000000134C8: BEFE0114
	global_atomic_add_f32 v6, v109, s[8:9]                     // 0000000134CC: DD348000 00086D06
	global_atomic_add_f32 v6, v113, s[8:9] offset:256          // 0000000134D4: DD348100 00087106
	s_mov_b64 exec, s[36:37]                                   // 0000000134DC: BEFE0124
	v_mov_b32_e32 v6, v76                                      // 0000000134E0: 7E0C034C
	s_mov_b64 s[60:61], 0                                      // 0000000134E4: BEBC0180
	v_readlane_b32 s82, v3, 12                                 // 0000000134E8: D2890052 00011903
	s_and_b32 s82, s82, 0xffffff                               // 0000000134F0: 8652FF52 00FFFFFF
	s_cmp_lt_u32 s82, s66                                      // 0000000134F8: BF0A4252
	s_cselect_b32 s20, s36, s60                                // 0000000134FC: 85143C24
	v_readlane_b32 s82, v3, 13                                 // 000000013500: D2890052 00011B03
	s_and_b32 s82, s82, 0xffffff                               // 000000013508: 8652FF52 00FFFFFF
	s_cmp_lt_u32 s82, s66                                      // 000000013510: BF0A4252
	s_cselect_b32 s21, s36, s60                                // 000000013514: 85153C24
	s_mov_b64 exec, s[20:21]                                   // 000000013518: BEFE0114
	global_atomic_add_f32 v6, v116, s[8:9]                     // 00000001351C: DD348000 00087406
	global_atomic_add_f32 v6, v120, s[8:9] offset:256          // 000000013524: DD348100 00087806
	s_mov_b64 exec, s[36:37]                                   // 00000001352C: BEFE0124
	v_mov_b32_e32 v6, v77                                      // 000000013530: 7E0C034D
	s_mov_b64 s[60:61], 0                                      // 000000013534: BEBC0180
	v_readlane_b32 s82, v3, 14                                 // 000000013538: D2890052 00011D03
	s_and_b32 s82, s82, 0xffffff                               // 000000013540: 8652FF52 00FFFFFF
	s_cmp_lt_u32 s82, s66                                      // 000000013548: BF0A4252
	s_cselect_b32 s20, s36, s60                                // 00000001354C: 85143C24
	v_readlane_b32 s82, v3, 15                                 // 000000013550: D2890052 00011F03
	s_and_b32 s82, s82, 0xffffff                               // 000000013558: 8652FF52 00FFFFFF
	s_cmp_lt_u32 s82, s66                                      // 000000013560: BF0A4252
	s_cselect_b32 s21, s36, s60                                // 000000013564: 85153C24
	s_mov_b64 exec, s[20:21]                                   // 000000013568: BEFE0114
	global_atomic_add_f32 v6, v117, s[8:9]                     // 00000001356C: DD348000 00087506
	global_atomic_add_f32 v6, v121, s[8:9] offset:256          // 000000013574: DD348100 00087906
	s_mov_b64 exec, s[36:37]                                   // 00000001357C: BEFE0124
	v_mov_b32_e32 v6, v78                                      // 000000013580: 7E0C034E
	s_mov_b64 s[60:61], 0                                      // 000000013584: BEBC0180
	v_readlane_b32 s82, v3, 16                                 // 000000013588: D2890052 00012103
	s_and_b32 s82, s82, 0xffffff                               // 000000013590: 8652FF52 00FFFFFF
	s_cmp_lt_u32 s82, s66                                      // 000000013598: BF0A4252
	s_cselect_b32 s20, s36, s60                                // 00000001359C: 85143C24
	v_readlane_b32 s82, v3, 17                                 // 0000000135A0: D2890052 00012303
	s_and_b32 s82, s82, 0xffffff                               // 0000000135A8: 8652FF52 00FFFFFF
	s_cmp_lt_u32 s82, s66                                      // 0000000135B0: BF0A4252
	s_cselect_b32 s21, s36, s60                                // 0000000135B4: 85153C24
	s_mov_b64 exec, s[20:21]                                   // 0000000135B8: BEFE0114
	global_atomic_add_f32 v6, v124, s[8:9]                     // 0000000135BC: DD348000 00087C06
	global_atomic_add_f32 v6, v128, s[8:9] offset:256          // 0000000135C4: DD348100 00088006
	s_mov_b64 exec, s[36:37]                                   // 0000000135CC: BEFE0124
	v_mov_b32_e32 v6, v79                                      // 0000000135D0: 7E0C034F
	s_mov_b64 s[60:61], 0                                      // 0000000135D4: BEBC0180
	v_readlane_b32 s82, v3, 18                                 // 0000000135D8: D2890052 00012503
	s_and_b32 s82, s82, 0xffffff                               // 0000000135E0: 8652FF52 00FFFFFF
	s_cmp_lt_u32 s82, s66                                      // 0000000135E8: BF0A4252
	s_cselect_b32 s20, s36, s60                                // 0000000135EC: 85143C24
	v_readlane_b32 s82, v3, 19                                 // 0000000135F0: D2890052 00012703
	s_and_b32 s82, s82, 0xffffff                               // 0000000135F8: 8652FF52 00FFFFFF
	s_cmp_lt_u32 s82, s66                                      // 000000013600: BF0A4252
	s_cselect_b32 s21, s36, s60                                // 000000013604: 85153C24
	s_mov_b64 exec, s[20:21]                                   // 000000013608: BEFE0114
	global_atomic_add_f32 v6, v125, s[8:9]                     // 00000001360C: DD348000 00087D06
	global_atomic_add_f32 v6, v129, s[8:9] offset:256          // 000000013614: DD348100 00088106
	s_mov_b64 exec, s[36:37]                                   // 00000001361C: BEFE0124
	v_mov_b32_e32 v6, v80                                      // 000000013620: 7E0C0350
	s_mov_b64 s[60:61], 0                                      // 000000013624: BEBC0180
	v_readlane_b32 s82, v3, 20                                 // 000000013628: D2890052 00012903
	s_and_b32 s82, s82, 0xffffff                               // 000000013630: 8652FF52 00FFFFFF
	s_cmp_lt_u32 s82, s66                                      // 000000013638: BF0A4252
	s_cselect_b32 s20, s36, s60                                // 00000001363C: 85143C24
	v_readlane_b32 s82, v3, 21                                 // 000000013640: D2890052 00012B03
	s_and_b32 s82, s82, 0xffffff                               // 000000013648: 8652FF52 00FFFFFF
	s_cmp_lt_u32 s82, s66                                      // 000000013650: BF0A4252
	s_cselect_b32 s21, s36, s60                                // 000000013654: 85153C24
	s_mov_b64 exec, s[20:21]                                   // 000000013658: BEFE0114
	global_atomic_add_f32 v6, v132, s[8:9]                     // 00000001365C: DD348000 00088406
	global_atomic_add_f32 v6, v136, s[8:9] offset:256          // 000000013664: DD348100 00088806
	s_mov_b64 exec, s[36:37]                                   // 00000001366C: BEFE0124
	v_mov_b32_e32 v6, v81                                      // 000000013670: 7E0C0351
	s_mov_b64 s[60:61], 0                                      // 000000013674: BEBC0180
	v_readlane_b32 s82, v3, 22                                 // 000000013678: D2890052 00012D03
	s_and_b32 s82, s82, 0xffffff                               // 000000013680: 8652FF52 00FFFFFF
	s_cmp_lt_u32 s82, s66                                      // 000000013688: BF0A4252
	s_cselect_b32 s20, s36, s60                                // 00000001368C: 85143C24
	v_readlane_b32 s82, v3, 23                                 // 000000013690: D2890052 00012F03
	s_and_b32 s82, s82, 0xffffff                               // 000000013698: 8652FF52 00FFFFFF
	s_cmp_lt_u32 s82, s66                                      // 0000000136A0: BF0A4252
	s_cselect_b32 s21, s36, s60                                // 0000000136A4: 85153C24
	s_mov_b64 exec, s[20:21]                                   // 0000000136A8: BEFE0114
	global_atomic_add_f32 v6, v133, s[8:9]                     // 0000000136AC: DD348000 00088506
	global_atomic_add_f32 v6, v137, s[8:9] offset:256          // 0000000136B4: DD348100 00088906
	s_mov_b64 exec, s[36:37]                                   // 0000000136BC: BEFE0124
	v_mov_b32_e32 v6, v82                                      // 0000000136C0: 7E0C0352
	s_mov_b64 s[60:61], 0                                      // 0000000136C4: BEBC0180
	v_readlane_b32 s82, v3, 24                                 // 0000000136C8: D2890052 00013103
	s_and_b32 s82, s82, 0xffffff                               // 0000000136D0: 8652FF52 00FFFFFF
	s_cmp_lt_u32 s82, s66                                      // 0000000136D8: BF0A4252
	s_cselect_b32 s20, s36, s60                                // 0000000136DC: 85143C24
	v_readlane_b32 s82, v3, 25                                 // 0000000136E0: D2890052 00013303
	s_and_b32 s82, s82, 0xffffff                               // 0000000136E8: 8652FF52 00FFFFFF
	s_cmp_lt_u32 s82, s66                                      // 0000000136F0: BF0A4252
	s_cselect_b32 s21, s36, s60                                // 0000000136F4: 85153C24
	s_mov_b64 exec, s[20:21]                                   // 0000000136F8: BEFE0114
	global_atomic_add_f32 v6, v140, s[8:9]                     // 0000000136FC: DD348000 00088C06
	global_atomic_add_f32 v6, v144, s[8:9] offset:256          // 000000013704: DD348100 00089006
	s_mov_b64 exec, s[36:37]                                   // 00000001370C: BEFE0124
	v_mov_b32_e32 v6, v83                                      // 000000013710: 7E0C0353
	s_mov_b64 s[60:61], 0                                      // 000000013714: BEBC0180
	v_readlane_b32 s82, v3, 26                                 // 000000013718: D2890052 00013503
	s_and_b32 s82, s82, 0xffffff                               // 000000013720: 8652FF52 00FFFFFF
	s_cmp_lt_u32 s82, s66                                      // 000000013728: BF0A4252
	s_cselect_b32 s20, s36, s60                                // 00000001372C: 85143C24
	v_readlane_b32 s82, v3, 27                                 // 000000013730: D2890052 00013703
	s_and_b32 s82, s82, 0xffffff                               // 000000013738: 8652FF52 00FFFFFF
	s_cmp_lt_u32 s82, s66                                      // 000000013740: BF0A4252
	s_cselect_b32 s21, s36, s60                                // 000000013744: 85153C24
	s_mov_b64 exec, s[20:21]                                   // 000000013748: BEFE0114
	global_atomic_add_f32 v6, v141, s[8:9]                     // 00000001374C: DD348000 00088D06
	global_atomic_add_f32 v6, v145, s[8:9] offset:256          // 000000013754: DD348100 00089106
	s_mov_b64 exec, s[36:37]                                   // 00000001375C: BEFE0124
	v_mov_b32_e32 v6, v84                                      // 000000013760: 7E0C0354
	s_mov_b64 s[60:61], 0                                      // 000000013764: BEBC0180
	v_readlane_b32 s82, v3, 28                                 // 000000013768: D2890052 00013903
	s_and_b32 s82, s82, 0xffffff                               // 000000013770: 8652FF52 00FFFFFF
	s_cmp_lt_u32 s82, s66                                      // 000000013778: BF0A4252
	s_cselect_b32 s20, s36, s60                                // 00000001377C: 85143C24
	v_readlane_b32 s82, v3, 29                                 // 000000013780: D2890052 00013B03
	s_and_b32 s82, s82, 0xffffff                               // 000000013788: 8652FF52 00FFFFFF
	s_cmp_lt_u32 s82, s66                                      // 000000013790: BF0A4252
	s_cselect_b32 s21, s36, s60                                // 000000013794: 85153C24
	s_mov_b64 exec, s[20:21]                                   // 000000013798: BEFE0114
	global_atomic_add_f32 v6, v148, s[8:9]                     // 00000001379C: DD348000 00089406
	global_atomic_add_f32 v6, v152, s[8:9] offset:256          // 0000000137A4: DD348100 00089806
	s_mov_b64 exec, s[36:37]                                   // 0000000137AC: BEFE0124
	v_mov_b32_e32 v6, v85                                      // 0000000137B0: 7E0C0355
	s_mov_b64 s[60:61], 0                                      // 0000000137B4: BEBC0180
	v_readlane_b32 s82, v3, 30                                 // 0000000137B8: D2890052 00013D03
	s_and_b32 s82, s82, 0xffffff                               // 0000000137C0: 8652FF52 00FFFFFF
	s_cmp_lt_u32 s82, s66                                      // 0000000137C8: BF0A4252
	s_cselect_b32 s20, s36, s60                                // 0000000137CC: 85143C24
	v_readlane_b32 s82, v3, 31                                 // 0000000137D0: D2890052 00013F03
	s_and_b32 s82, s82, 0xffffff                               // 0000000137D8: 8652FF52 00FFFFFF
	s_cmp_lt_u32 s82, s66                                      // 0000000137E0: BF0A4252
	s_cselect_b32 s21, s36, s60                                // 0000000137E4: 85153C24
	s_mov_b64 exec, s[20:21]                                   // 0000000137E8: BEFE0114
	global_atomic_add_f32 v6, v149, s[8:9]                     // 0000000137EC: DD348000 00089506
	global_atomic_add_f32 v6, v153, s[8:9] offset:256          // 0000000137F4: DD348100 00089906
	s_mov_b64 exec, s[36:37]                                   // 0000000137FC: BEFE0124
	v_mov_b32_e32 v6, v86                                      // 000000013800: 7E0C0356
	s_mov_b64 s[60:61], 0                                      // 000000013804: BEBC0180
	v_readlane_b32 s82, v3, 32                                 // 000000013808: D2890052 00014103
	s_and_b32 s82, s82, 0xffffff                               // 000000013810: 8652FF52 00FFFFFF
	s_cmp_lt_u32 s82, s66                                      // 000000013818: BF0A4252
	s_cselect_b32 s20, s36, s60                                // 00000001381C: 85143C24
	v_readlane_b32 s82, v3, 33                                 // 000000013820: D2890052 00014303
	s_and_b32 s82, s82, 0xffffff                               // 000000013828: 8652FF52 00FFFFFF
	s_cmp_lt_u32 s82, s66                                      // 000000013830: BF0A4252
	s_cselect_b32 s21, s36, s60                                // 000000013834: 85153C24
	s_mov_b64 exec, s[20:21]                                   // 000000013838: BEFE0114
	global_atomic_add_f32 v6, v156, s[8:9]                     // 00000001383C: DD348000 00089C06
	global_atomic_add_f32 v6, v160, s[8:9] offset:256          // 000000013844: DD348100 0008A006
	s_mov_b64 exec, s[36:37]                                   // 00000001384C: BEFE0124
	v_mov_b32_e32 v6, v87                                      // 000000013850: 7E0C0357
	s_mov_b64 s[60:61], 0                                      // 000000013854: BEBC0180
	v_readlane_b32 s82, v3, 34                                 // 000000013858: D2890052 00014503
	s_and_b32 s82, s82, 0xffffff                               // 000000013860: 8652FF52 00FFFFFF
	s_cmp_lt_u32 s82, s66                                      // 000000013868: BF0A4252
	s_cselect_b32 s20, s36, s60                                // 00000001386C: 85143C24
	v_readlane_b32 s82, v3, 35                                 // 000000013870: D2890052 00014703
	s_and_b32 s82, s82, 0xffffff                               // 000000013878: 8652FF52 00FFFFFF
	s_cmp_lt_u32 s82, s66                                      // 000000013880: BF0A4252
	s_cselect_b32 s21, s36, s60                                // 000000013884: 85153C24
	s_mov_b64 exec, s[20:21]                                   // 000000013888: BEFE0114
	global_atomic_add_f32 v6, v157, s[8:9]                     // 00000001388C: DD348000 00089D06
	global_atomic_add_f32 v6, v161, s[8:9] offset:256          // 000000013894: DD348100 0008A106
	s_mov_b64 exec, s[36:37]                                   // 00000001389C: BEFE0124
	v_mov_b32_e32 v6, v88                                      // 0000000138A0: 7E0C0358
	s_mov_b64 s[60:61], 0                                      // 0000000138A4: BEBC0180
	v_readlane_b32 s82, v3, 36                                 // 0000000138A8: D2890052 00014903
	s_and_b32 s82, s82, 0xffffff                               // 0000000138B0: 8652FF52 00FFFFFF
	s_cmp_lt_u32 s82, s66                                      // 0000000138B8: BF0A4252
	s_cselect_b32 s20, s36, s60                                // 0000000138BC: 85143C24
	v_readlane_b32 s82, v3, 37                                 // 0000000138C0: D2890052 00014B03
	s_and_b32 s82, s82, 0xffffff                               // 0000000138C8: 8652FF52 00FFFFFF
	s_cmp_lt_u32 s82, s66                                      // 0000000138D0: BF0A4252
	s_cselect_b32 s21, s36, s60                                // 0000000138D4: 85153C24
	s_mov_b64 exec, s[20:21]                                   // 0000000138D8: BEFE0114
	global_atomic_add_f32 v6, v164, s[8:9]                     // 0000000138DC: DD348000 0008A406
	global_atomic_add_f32 v6, v168, s[8:9] offset:256          // 0000000138E4: DD348100 0008A806
	s_mov_b64 exec, s[36:37]                                   // 0000000138EC: BEFE0124
	v_mov_b32_e32 v6, v89                                      // 0000000138F0: 7E0C0359
	s_mov_b64 s[60:61], 0                                      // 0000000138F4: BEBC0180
	v_readlane_b32 s82, v3, 38                                 // 0000000138F8: D2890052 00014D03
	s_and_b32 s82, s82, 0xffffff                               // 000000013900: 8652FF52 00FFFFFF
	s_cmp_lt_u32 s82, s66                                      // 000000013908: BF0A4252
	s_cselect_b32 s20, s36, s60                                // 00000001390C: 85143C24
	v_readlane_b32 s82, v3, 39                                 // 000000013910: D2890052 00014F03
	s_and_b32 s82, s82, 0xffffff                               // 000000013918: 8652FF52 00FFFFFF
	s_cmp_lt_u32 s82, s66                                      // 000000013920: BF0A4252
	s_cselect_b32 s21, s36, s60                                // 000000013924: 85153C24
	s_mov_b64 exec, s[20:21]                                   // 000000013928: BEFE0114
	global_atomic_add_f32 v6, v165, s[8:9]                     // 00000001392C: DD348000 0008A506
	global_atomic_add_f32 v6, v169, s[8:9] offset:256          // 000000013934: DD348100 0008A906
	s_mov_b64 exec, s[36:37]                                   // 00000001393C: BEFE0124
	ds_write_b64 v20, v[94:95]                                 // 000000013940: D89A0000 00005E14
	ds_write_b64 v20, v[98:99] offset:4352                     // 000000013948: D89A1100 00006214
	ds_write_b64 v20, v[102:103] offset:8704                   // 000000013950: D89A2200 00006614
	ds_write_b64 v20, v[106:107] offset:13056                  // 000000013958: D89A3300 00006A14
	ds_write_b64 v20, v[110:111] offset:17408                  // 000000013960: D89A4400 00006E14
	ds_write_b64 v20, v[114:115] offset:21760                  // 000000013968: D89A5500 00007214
	ds_write_b64 v20, v[118:119] offset:26112                  // 000000013970: D89A6600 00007614
	ds_write_b64 v20, v[122:123] offset:30464                  // 000000013978: D89A7700 00007A14
	ds_write_b64 v20, v[126:127] offset:34816                  // 000000013980: D89A8800 00007E14
	ds_write_b64 v20, v[130:131] offset:39168                  // 000000013988: D89A9900 00008214
	ds_write_b64 v20, v[134:135] offset:2176                   // 000000013990: D89A0880 00008614
	ds_write_b64 v20, v[138:139] offset:6528                   // 000000013998: D89A1980 00008A14
	ds_write_b64 v20, v[142:143] offset:10880                  // 0000000139A0: D89A2A80 00008E14
	ds_write_b64 v20, v[146:147] offset:15232                  // 0000000139A8: D89A3B80 00009214
	ds_write_b64 v20, v[150:151] offset:19584                  // 0000000139B0: D89A4C80 00009614
	ds_write_b64 v20, v[154:155] offset:23936                  // 0000000139B8: D89A5D80 00009A14
	ds_write_b64 v20, v[158:159] offset:28288                  // 0000000139C0: D89A6E80 00009E14
	ds_write_b64 v20, v[162:163] offset:32640                  // 0000000139C8: D89A7F80 0000A214
	ds_write_b64 v20, v[166:167] offset:36992                  // 0000000139D0: D89A9080 0000A614
	ds_write_b64 v20, v[170:171] offset:41344                  // 0000000139D8: D89AA180 0000AA14
	s_waitcnt lgkmcnt(0)                                       // 0000000139E0: BF8CC07F
	s_barrier                                                  // 0000000139E4: BF8A0000
	ds_read_b32 v94, v21                                       // 0000000139E8: D86C0000 5E000015
	ds_read_b32 v95, v21 offset:64                             // 0000000139F0: D86C0040 5F000015
	ds_read_b32 v98, v21 offset:2176                           // 0000000139F8: D86C0880 62000015
	ds_read_b32 v99, v21 offset:2240                           // 000000013A00: D86C08C0 63000015
	ds_read_b32 v102, v21 offset:4352                          // 000000013A08: D86C1100 66000015
	ds_read_b32 v103, v21 offset:4416                          // 000000013A10: D86C1140 67000015
	ds_read_b32 v106, v21 offset:6528                          // 000000013A18: D86C1980 6A000015
	ds_read_b32 v107, v21 offset:6592                          // 000000013A20: D86C19C0 6B000015
	ds_read_b32 v110, v21 offset:8704                          // 000000013A28: D86C2200 6E000015
	ds_read_b32 v111, v21 offset:8768                          // 000000013A30: D86C2240 6F000015
	ds_read_b32 v114, v21 offset:10880                         // 000000013A38: D86C2A80 72000015
	ds_read_b32 v115, v21 offset:10944                         // 000000013A40: D86C2AC0 73000015
	ds_read_b32 v118, v21 offset:13056                         // 000000013A48: D86C3300 76000015
	ds_read_b32 v119, v21 offset:13120                         // 000000013A50: D86C3340 77000015
	ds_read_b32 v122, v21 offset:15232                         // 000000013A58: D86C3B80 7A000015
	ds_read_b32 v123, v21 offset:15296                         // 000000013A60: D86C3BC0 7B000015
	ds_read_b32 v126, v21 offset:17408                         // 000000013A68: D86C4400 7E000015
	ds_read_b32 v127, v21 offset:17472                         // 000000013A70: D86C4440 7F000015
	ds_read_b32 v130, v21 offset:19584                         // 000000013A78: D86C4C80 82000015
	ds_read_b32 v131, v21 offset:19648                         // 000000013A80: D86C4CC0 83000015
	ds_read_b32 v134, v21 offset:21760                         // 000000013A88: D86C5500 86000015
	ds_read_b32 v135, v21 offset:21824                         // 000000013A90: D86C5540 87000015
	ds_read_b32 v138, v21 offset:23936                         // 000000013A98: D86C5D80 8A000015
	ds_read_b32 v139, v21 offset:24000                         // 000000013AA0: D86C5DC0 8B000015
	ds_read_b32 v142, v21 offset:26112                         // 000000013AA8: D86C6600 8E000015
	ds_read_b32 v143, v21 offset:26176                         // 000000013AB0: D86C6640 8F000015
	ds_read_b32 v146, v21 offset:28288                         // 000000013AB8: D86C6E80 92000015
	ds_read_b32 v147, v21 offset:28352                         // 000000013AC0: D86C6EC0 93000015
	ds_read_b32 v150, v21 offset:30464                         // 000000013AC8: D86C7700 96000015
	ds_read_b32 v151, v21 offset:30528                         // 000000013AD0: D86C7740 97000015
	ds_read_b32 v154, v21 offset:32640                         // 000000013AD8: D86C7F80 9A000015
	ds_read_b32 v155, v21 offset:32704                         // 000000013AE0: D86C7FC0 9B000015
	ds_read_b32 v158, v21 offset:34816                         // 000000013AE8: D86C8800 9E000015
	ds_read_b32 v159, v21 offset:34880                         // 000000013AF0: D86C8840 9F000015
	ds_read_b32 v162, v21 offset:36992                         // 000000013AF8: D86C9080 A2000015
	ds_read_b32 v163, v21 offset:37056                         // 000000013B00: D86C90C0 A3000015
	ds_read_b32 v166, v21 offset:39168                         // 000000013B08: D86C9900 A6000015
	ds_read_b32 v167, v21 offset:39232                         // 000000013B10: D86C9940 A7000015
	ds_read_b32 v170, v21 offset:41344                         // 000000013B18: D86CA180 AA000015
	ds_read_b32 v171, v21 offset:41408                         // 000000013B20: D86CA1C0 AB000015
	s_waitcnt lgkmcnt(0)                                       // 000000013B28: BF8CC07F
	v_mov_b32_e32 v7, 0                                        // 000000013B2C: 7E0E0280
	s_mov_b64 exec, s[36:37]                                   // 000000013B30: BEFE0124
	v_mov_b32_e32 v6, v70                                      // 000000013B34: 7E0C0346
	s_mov_b64 s[60:61], 0                                      // 000000013B38: BEBC0180
	v_readlane_b32 s82, v3, 0                                  // 000000013B3C: D2890052 00010103
	s_and_b32 s82, s82, 0xffffff                               // 000000013B44: 8652FF52 00FFFFFF
	s_cmp_lt_u32 s82, s66                                      // 000000013B4C: BF0A4252
	s_cselect_b32 s20, s36, s60                                // 000000013B50: 85143C24
	v_readlane_b32 s82, v3, 1                                  // 000000013B54: D2890052 00010303
	s_and_b32 s82, s82, 0xffffff                               // 000000013B5C: 8652FF52 00FFFFFF
	s_cmp_lt_u32 s82, s66                                      // 000000013B64: BF0A4252
	s_cselect_b32 s21, s36, s60                                // 000000013B68: 85153C24
	s_mov_b64 exec, s[20:21]                                   // 000000013B6C: BEFE0114
	global_atomic_add_f32 v6, v94, s[8:9] offset:8             // 000000013B70: DD348008 00085E06
	global_atomic_add_f32 v6, v98, s[8:9] offset:264           // 000000013B78: DD348108 00086206
	s_mov_b64 exec, s[36:37]                                   // 000000013B80: BEFE0124
	v_mov_b32_e32 v6, v71                                      // 000000013B84: 7E0C0347
	s_mov_b64 s[60:61], 0                                      // 000000013B88: BEBC0180
	v_readlane_b32 s82, v3, 2                                  // 000000013B8C: D2890052 00010503
	s_and_b32 s82, s82, 0xffffff                               // 000000013B94: 8652FF52 00FFFFFF
	s_cmp_lt_u32 s82, s66                                      // 000000013B9C: BF0A4252
	s_cselect_b32 s20, s36, s60                                // 000000013BA0: 85143C24
	v_readlane_b32 s82, v3, 3                                  // 000000013BA4: D2890052 00010703
	s_and_b32 s82, s82, 0xffffff                               // 000000013BAC: 8652FF52 00FFFFFF
	s_cmp_lt_u32 s82, s66                                      // 000000013BB4: BF0A4252
	s_cselect_b32 s21, s36, s60                                // 000000013BB8: 85153C24
	s_mov_b64 exec, s[20:21]                                   // 000000013BBC: BEFE0114
	global_atomic_add_f32 v6, v95, s[8:9] offset:8             // 000000013BC0: DD348008 00085F06
	global_atomic_add_f32 v6, v99, s[8:9] offset:264           // 000000013BC8: DD348108 00086306
	s_mov_b64 exec, s[36:37]                                   // 000000013BD0: BEFE0124
	v_mov_b32_e32 v6, v72                                      // 000000013BD4: 7E0C0348
	s_mov_b64 s[60:61], 0                                      // 000000013BD8: BEBC0180
	v_readlane_b32 s82, v3, 4                                  // 000000013BDC: D2890052 00010903
	s_and_b32 s82, s82, 0xffffff                               // 000000013BE4: 8652FF52 00FFFFFF
	s_cmp_lt_u32 s82, s66                                      // 000000013BEC: BF0A4252
	s_cselect_b32 s20, s36, s60                                // 000000013BF0: 85143C24
	v_readlane_b32 s82, v3, 5                                  // 000000013BF4: D2890052 00010B03
	s_and_b32 s82, s82, 0xffffff                               // 000000013BFC: 8652FF52 00FFFFFF
	s_cmp_lt_u32 s82, s66                                      // 000000013C04: BF0A4252
	s_cselect_b32 s21, s36, s60                                // 000000013C08: 85153C24
	s_mov_b64 exec, s[20:21]                                   // 000000013C0C: BEFE0114
	global_atomic_add_f32 v6, v102, s[8:9] offset:8            // 000000013C10: DD348008 00086606
	global_atomic_add_f32 v6, v106, s[8:9] offset:264          // 000000013C18: DD348108 00086A06
	s_mov_b64 exec, s[36:37]                                   // 000000013C20: BEFE0124
	v_mov_b32_e32 v6, v73                                      // 000000013C24: 7E0C0349
	s_mov_b64 s[60:61], 0                                      // 000000013C28: BEBC0180
	v_readlane_b32 s82, v3, 6                                  // 000000013C2C: D2890052 00010D03
	s_and_b32 s82, s82, 0xffffff                               // 000000013C34: 8652FF52 00FFFFFF
	s_cmp_lt_u32 s82, s66                                      // 000000013C3C: BF0A4252
	s_cselect_b32 s20, s36, s60                                // 000000013C40: 85143C24
	v_readlane_b32 s82, v3, 7                                  // 000000013C44: D2890052 00010F03
	s_and_b32 s82, s82, 0xffffff                               // 000000013C4C: 8652FF52 00FFFFFF
	s_cmp_lt_u32 s82, s66                                      // 000000013C54: BF0A4252
	s_cselect_b32 s21, s36, s60                                // 000000013C58: 85153C24
	s_mov_b64 exec, s[20:21]                                   // 000000013C5C: BEFE0114
	global_atomic_add_f32 v6, v103, s[8:9] offset:8            // 000000013C60: DD348008 00086706
	global_atomic_add_f32 v6, v107, s[8:9] offset:264          // 000000013C68: DD348108 00086B06
	s_mov_b64 exec, s[36:37]                                   // 000000013C70: BEFE0124
	v_mov_b32_e32 v6, v74                                      // 000000013C74: 7E0C034A
	s_mov_b64 s[60:61], 0                                      // 000000013C78: BEBC0180
	v_readlane_b32 s82, v3, 8                                  // 000000013C7C: D2890052 00011103
	s_and_b32 s82, s82, 0xffffff                               // 000000013C84: 8652FF52 00FFFFFF
	s_cmp_lt_u32 s82, s66                                      // 000000013C8C: BF0A4252
	s_cselect_b32 s20, s36, s60                                // 000000013C90: 85143C24
	v_readlane_b32 s82, v3, 9                                  // 000000013C94: D2890052 00011303
	s_and_b32 s82, s82, 0xffffff                               // 000000013C9C: 8652FF52 00FFFFFF
	s_cmp_lt_u32 s82, s66                                      // 000000013CA4: BF0A4252
	s_cselect_b32 s21, s36, s60                                // 000000013CA8: 85153C24
	s_mov_b64 exec, s[20:21]                                   // 000000013CAC: BEFE0114
	global_atomic_add_f32 v6, v110, s[8:9] offset:8            // 000000013CB0: DD348008 00086E06
	global_atomic_add_f32 v6, v114, s[8:9] offset:264          // 000000013CB8: DD348108 00087206
	s_mov_b64 exec, s[36:37]                                   // 000000013CC0: BEFE0124
	v_mov_b32_e32 v6, v75                                      // 000000013CC4: 7E0C034B
	s_mov_b64 s[60:61], 0                                      // 000000013CC8: BEBC0180
	v_readlane_b32 s82, v3, 10                                 // 000000013CCC: D2890052 00011503
	s_and_b32 s82, s82, 0xffffff                               // 000000013CD4: 8652FF52 00FFFFFF
	s_cmp_lt_u32 s82, s66                                      // 000000013CDC: BF0A4252
	s_cselect_b32 s20, s36, s60                                // 000000013CE0: 85143C24
	v_readlane_b32 s82, v3, 11                                 // 000000013CE4: D2890052 00011703
	s_and_b32 s82, s82, 0xffffff                               // 000000013CEC: 8652FF52 00FFFFFF
	s_cmp_lt_u32 s82, s66                                      // 000000013CF4: BF0A4252
	s_cselect_b32 s21, s36, s60                                // 000000013CF8: 85153C24
	s_mov_b64 exec, s[20:21]                                   // 000000013CFC: BEFE0114
	global_atomic_add_f32 v6, v111, s[8:9] offset:8            // 000000013D00: DD348008 00086F06
	global_atomic_add_f32 v6, v115, s[8:9] offset:264          // 000000013D08: DD348108 00087306
	s_mov_b64 exec, s[36:37]                                   // 000000013D10: BEFE0124
	v_mov_b32_e32 v6, v76                                      // 000000013D14: 7E0C034C
	s_mov_b64 s[60:61], 0                                      // 000000013D18: BEBC0180
	v_readlane_b32 s82, v3, 12                                 // 000000013D1C: D2890052 00011903
	s_and_b32 s82, s82, 0xffffff                               // 000000013D24: 8652FF52 00FFFFFF
	s_cmp_lt_u32 s82, s66                                      // 000000013D2C: BF0A4252
	s_cselect_b32 s20, s36, s60                                // 000000013D30: 85143C24
	v_readlane_b32 s82, v3, 13                                 // 000000013D34: D2890052 00011B03
	s_and_b32 s82, s82, 0xffffff                               // 000000013D3C: 8652FF52 00FFFFFF
	s_cmp_lt_u32 s82, s66                                      // 000000013D44: BF0A4252
	s_cselect_b32 s21, s36, s60                                // 000000013D48: 85153C24
	s_mov_b64 exec, s[20:21]                                   // 000000013D4C: BEFE0114
	global_atomic_add_f32 v6, v118, s[8:9] offset:8            // 000000013D50: DD348008 00087606
	global_atomic_add_f32 v6, v122, s[8:9] offset:264          // 000000013D58: DD348108 00087A06
	s_mov_b64 exec, s[36:37]                                   // 000000013D60: BEFE0124
	v_mov_b32_e32 v6, v77                                      // 000000013D64: 7E0C034D
	s_mov_b64 s[60:61], 0                                      // 000000013D68: BEBC0180
	v_readlane_b32 s82, v3, 14                                 // 000000013D6C: D2890052 00011D03
	s_and_b32 s82, s82, 0xffffff                               // 000000013D74: 8652FF52 00FFFFFF
	s_cmp_lt_u32 s82, s66                                      // 000000013D7C: BF0A4252
	s_cselect_b32 s20, s36, s60                                // 000000013D80: 85143C24
	v_readlane_b32 s82, v3, 15                                 // 000000013D84: D2890052 00011F03
	s_and_b32 s82, s82, 0xffffff                               // 000000013D8C: 8652FF52 00FFFFFF
	s_cmp_lt_u32 s82, s66                                      // 000000013D94: BF0A4252
	s_cselect_b32 s21, s36, s60                                // 000000013D98: 85153C24
	s_mov_b64 exec, s[20:21]                                   // 000000013D9C: BEFE0114
	global_atomic_add_f32 v6, v119, s[8:9] offset:8            // 000000013DA0: DD348008 00087706
	global_atomic_add_f32 v6, v123, s[8:9] offset:264          // 000000013DA8: DD348108 00087B06
	s_mov_b64 exec, s[36:37]                                   // 000000013DB0: BEFE0124
	v_mov_b32_e32 v6, v78                                      // 000000013DB4: 7E0C034E
	s_mov_b64 s[60:61], 0                                      // 000000013DB8: BEBC0180
	v_readlane_b32 s82, v3, 16                                 // 000000013DBC: D2890052 00012103
	s_and_b32 s82, s82, 0xffffff                               // 000000013DC4: 8652FF52 00FFFFFF
	s_cmp_lt_u32 s82, s66                                      // 000000013DCC: BF0A4252
	s_cselect_b32 s20, s36, s60                                // 000000013DD0: 85143C24
	v_readlane_b32 s82, v3, 17                                 // 000000013DD4: D2890052 00012303
	s_and_b32 s82, s82, 0xffffff                               // 000000013DDC: 8652FF52 00FFFFFF
	s_cmp_lt_u32 s82, s66                                      // 000000013DE4: BF0A4252
	s_cselect_b32 s21, s36, s60                                // 000000013DE8: 85153C24
	s_mov_b64 exec, s[20:21]                                   // 000000013DEC: BEFE0114
	global_atomic_add_f32 v6, v126, s[8:9] offset:8            // 000000013DF0: DD348008 00087E06
	global_atomic_add_f32 v6, v130, s[8:9] offset:264          // 000000013DF8: DD348108 00088206
	s_mov_b64 exec, s[36:37]                                   // 000000013E00: BEFE0124
	v_mov_b32_e32 v6, v79                                      // 000000013E04: 7E0C034F
	s_mov_b64 s[60:61], 0                                      // 000000013E08: BEBC0180
	v_readlane_b32 s82, v3, 18                                 // 000000013E0C: D2890052 00012503
	s_and_b32 s82, s82, 0xffffff                               // 000000013E14: 8652FF52 00FFFFFF
	s_cmp_lt_u32 s82, s66                                      // 000000013E1C: BF0A4252
	s_cselect_b32 s20, s36, s60                                // 000000013E20: 85143C24
	v_readlane_b32 s82, v3, 19                                 // 000000013E24: D2890052 00012703
	s_and_b32 s82, s82, 0xffffff                               // 000000013E2C: 8652FF52 00FFFFFF
	s_cmp_lt_u32 s82, s66                                      // 000000013E34: BF0A4252
	s_cselect_b32 s21, s36, s60                                // 000000013E38: 85153C24
	s_mov_b64 exec, s[20:21]                                   // 000000013E3C: BEFE0114
	global_atomic_add_f32 v6, v127, s[8:9] offset:8            // 000000013E40: DD348008 00087F06
	global_atomic_add_f32 v6, v131, s[8:9] offset:264          // 000000013E48: DD348108 00088306
	s_mov_b64 exec, s[36:37]                                   // 000000013E50: BEFE0124
	v_mov_b32_e32 v6, v80                                      // 000000013E54: 7E0C0350
	s_mov_b64 s[60:61], 0                                      // 000000013E58: BEBC0180
	v_readlane_b32 s82, v3, 20                                 // 000000013E5C: D2890052 00012903
	s_and_b32 s82, s82, 0xffffff                               // 000000013E64: 8652FF52 00FFFFFF
	s_cmp_lt_u32 s82, s66                                      // 000000013E6C: BF0A4252
	s_cselect_b32 s20, s36, s60                                // 000000013E70: 85143C24
	v_readlane_b32 s82, v3, 21                                 // 000000013E74: D2890052 00012B03
	s_and_b32 s82, s82, 0xffffff                               // 000000013E7C: 8652FF52 00FFFFFF
	s_cmp_lt_u32 s82, s66                                      // 000000013E84: BF0A4252
	s_cselect_b32 s21, s36, s60                                // 000000013E88: 85153C24
	s_mov_b64 exec, s[20:21]                                   // 000000013E8C: BEFE0114
	global_atomic_add_f32 v6, v134, s[8:9] offset:8            // 000000013E90: DD348008 00088606
	global_atomic_add_f32 v6, v138, s[8:9] offset:264          // 000000013E98: DD348108 00088A06
	s_mov_b64 exec, s[36:37]                                   // 000000013EA0: BEFE0124
	v_mov_b32_e32 v6, v81                                      // 000000013EA4: 7E0C0351
	s_mov_b64 s[60:61], 0                                      // 000000013EA8: BEBC0180
	v_readlane_b32 s82, v3, 22                                 // 000000013EAC: D2890052 00012D03
	s_and_b32 s82, s82, 0xffffff                               // 000000013EB4: 8652FF52 00FFFFFF
	s_cmp_lt_u32 s82, s66                                      // 000000013EBC: BF0A4252
	s_cselect_b32 s20, s36, s60                                // 000000013EC0: 85143C24
	v_readlane_b32 s82, v3, 23                                 // 000000013EC4: D2890052 00012F03
	s_and_b32 s82, s82, 0xffffff                               // 000000013ECC: 8652FF52 00FFFFFF
	s_cmp_lt_u32 s82, s66                                      // 000000013ED4: BF0A4252
	s_cselect_b32 s21, s36, s60                                // 000000013ED8: 85153C24
	s_mov_b64 exec, s[20:21]                                   // 000000013EDC: BEFE0114
	global_atomic_add_f32 v6, v135, s[8:9] offset:8            // 000000013EE0: DD348008 00088706
	global_atomic_add_f32 v6, v139, s[8:9] offset:264          // 000000013EE8: DD348108 00088B06
	s_mov_b64 exec, s[36:37]                                   // 000000013EF0: BEFE0124
	v_mov_b32_e32 v6, v82                                      // 000000013EF4: 7E0C0352
	s_mov_b64 s[60:61], 0                                      // 000000013EF8: BEBC0180
	v_readlane_b32 s82, v3, 24                                 // 000000013EFC: D2890052 00013103
	s_and_b32 s82, s82, 0xffffff                               // 000000013F04: 8652FF52 00FFFFFF
	s_cmp_lt_u32 s82, s66                                      // 000000013F0C: BF0A4252
	s_cselect_b32 s20, s36, s60                                // 000000013F10: 85143C24
	v_readlane_b32 s82, v3, 25                                 // 000000013F14: D2890052 00013303
	s_and_b32 s82, s82, 0xffffff                               // 000000013F1C: 8652FF52 00FFFFFF
	s_cmp_lt_u32 s82, s66                                      // 000000013F24: BF0A4252
	s_cselect_b32 s21, s36, s60                                // 000000013F28: 85153C24
	s_mov_b64 exec, s[20:21]                                   // 000000013F2C: BEFE0114
	global_atomic_add_f32 v6, v142, s[8:9] offset:8            // 000000013F30: DD348008 00088E06
	global_atomic_add_f32 v6, v146, s[8:9] offset:264          // 000000013F38: DD348108 00089206
	s_mov_b64 exec, s[36:37]                                   // 000000013F40: BEFE0124
	v_mov_b32_e32 v6, v83                                      // 000000013F44: 7E0C0353
	s_mov_b64 s[60:61], 0                                      // 000000013F48: BEBC0180
	v_readlane_b32 s82, v3, 26                                 // 000000013F4C: D2890052 00013503
	s_and_b32 s82, s82, 0xffffff                               // 000000013F54: 8652FF52 00FFFFFF
	s_cmp_lt_u32 s82, s66                                      // 000000013F5C: BF0A4252
	s_cselect_b32 s20, s36, s60                                // 000000013F60: 85143C24
	v_readlane_b32 s82, v3, 27                                 // 000000013F64: D2890052 00013703
	s_and_b32 s82, s82, 0xffffff                               // 000000013F6C: 8652FF52 00FFFFFF
	s_cmp_lt_u32 s82, s66                                      // 000000013F74: BF0A4252
	s_cselect_b32 s21, s36, s60                                // 000000013F78: 85153C24
	s_mov_b64 exec, s[20:21]                                   // 000000013F7C: BEFE0114
	global_atomic_add_f32 v6, v143, s[8:9] offset:8            // 000000013F80: DD348008 00088F06
	global_atomic_add_f32 v6, v147, s[8:9] offset:264          // 000000013F88: DD348108 00089306
	s_mov_b64 exec, s[36:37]                                   // 000000013F90: BEFE0124
	v_mov_b32_e32 v6, v84                                      // 000000013F94: 7E0C0354
	s_mov_b64 s[60:61], 0                                      // 000000013F98: BEBC0180
	v_readlane_b32 s82, v3, 28                                 // 000000013F9C: D2890052 00013903
	s_and_b32 s82, s82, 0xffffff                               // 000000013FA4: 8652FF52 00FFFFFF
	s_cmp_lt_u32 s82, s66                                      // 000000013FAC: BF0A4252
	s_cselect_b32 s20, s36, s60                                // 000000013FB0: 85143C24
	v_readlane_b32 s82, v3, 29                                 // 000000013FB4: D2890052 00013B03
	s_and_b32 s82, s82, 0xffffff                               // 000000013FBC: 8652FF52 00FFFFFF
	s_cmp_lt_u32 s82, s66                                      // 000000013FC4: BF0A4252
	s_cselect_b32 s21, s36, s60                                // 000000013FC8: 85153C24
	s_mov_b64 exec, s[20:21]                                   // 000000013FCC: BEFE0114
	global_atomic_add_f32 v6, v150, s[8:9] offset:8            // 000000013FD0: DD348008 00089606
	global_atomic_add_f32 v6, v154, s[8:9] offset:264          // 000000013FD8: DD348108 00089A06
	s_mov_b64 exec, s[36:37]                                   // 000000013FE0: BEFE0124
	v_mov_b32_e32 v6, v85                                      // 000000013FE4: 7E0C0355
	s_mov_b64 s[60:61], 0                                      // 000000013FE8: BEBC0180
	v_readlane_b32 s82, v3, 30                                 // 000000013FEC: D2890052 00013D03
	s_and_b32 s82, s82, 0xffffff                               // 000000013FF4: 8652FF52 00FFFFFF
	s_cmp_lt_u32 s82, s66                                      // 000000013FFC: BF0A4252
	s_cselect_b32 s20, s36, s60                                // 000000014000: 85143C24
	v_readlane_b32 s82, v3, 31                                 // 000000014004: D2890052 00013F03
	s_and_b32 s82, s82, 0xffffff                               // 00000001400C: 8652FF52 00FFFFFF
	s_cmp_lt_u32 s82, s66                                      // 000000014014: BF0A4252
	s_cselect_b32 s21, s36, s60                                // 000000014018: 85153C24
	s_mov_b64 exec, s[20:21]                                   // 00000001401C: BEFE0114
	global_atomic_add_f32 v6, v151, s[8:9] offset:8            // 000000014020: DD348008 00089706
	global_atomic_add_f32 v6, v155, s[8:9] offset:264          // 000000014028: DD348108 00089B06
	s_mov_b64 exec, s[36:37]                                   // 000000014030: BEFE0124
	v_mov_b32_e32 v6, v86                                      // 000000014034: 7E0C0356
	s_mov_b64 s[60:61], 0                                      // 000000014038: BEBC0180
	v_readlane_b32 s82, v3, 32                                 // 00000001403C: D2890052 00014103
	s_and_b32 s82, s82, 0xffffff                               // 000000014044: 8652FF52 00FFFFFF
	s_cmp_lt_u32 s82, s66                                      // 00000001404C: BF0A4252
	s_cselect_b32 s20, s36, s60                                // 000000014050: 85143C24
	v_readlane_b32 s82, v3, 33                                 // 000000014054: D2890052 00014303
	s_and_b32 s82, s82, 0xffffff                               // 00000001405C: 8652FF52 00FFFFFF
	s_cmp_lt_u32 s82, s66                                      // 000000014064: BF0A4252
	s_cselect_b32 s21, s36, s60                                // 000000014068: 85153C24
	s_mov_b64 exec, s[20:21]                                   // 00000001406C: BEFE0114
	global_atomic_add_f32 v6, v158, s[8:9] offset:8            // 000000014070: DD348008 00089E06
	global_atomic_add_f32 v6, v162, s[8:9] offset:264          // 000000014078: DD348108 0008A206
	s_mov_b64 exec, s[36:37]                                   // 000000014080: BEFE0124
	v_mov_b32_e32 v6, v87                                      // 000000014084: 7E0C0357
	s_mov_b64 s[60:61], 0                                      // 000000014088: BEBC0180
	v_readlane_b32 s82, v3, 34                                 // 00000001408C: D2890052 00014503
	s_and_b32 s82, s82, 0xffffff                               // 000000014094: 8652FF52 00FFFFFF
	s_cmp_lt_u32 s82, s66                                      // 00000001409C: BF0A4252
	s_cselect_b32 s20, s36, s60                                // 0000000140A0: 85143C24
	v_readlane_b32 s82, v3, 35                                 // 0000000140A4: D2890052 00014703
	s_and_b32 s82, s82, 0xffffff                               // 0000000140AC: 8652FF52 00FFFFFF
	s_cmp_lt_u32 s82, s66                                      // 0000000140B4: BF0A4252
	s_cselect_b32 s21, s36, s60                                // 0000000140B8: 85153C24
	s_mov_b64 exec, s[20:21]                                   // 0000000140BC: BEFE0114
	global_atomic_add_f32 v6, v159, s[8:9] offset:8            // 0000000140C0: DD348008 00089F06
	global_atomic_add_f32 v6, v163, s[8:9] offset:264          // 0000000140C8: DD348108 0008A306
	s_mov_b64 exec, s[36:37]                                   // 0000000140D0: BEFE0124
	v_mov_b32_e32 v6, v88                                      // 0000000140D4: 7E0C0358
	s_mov_b64 s[60:61], 0                                      // 0000000140D8: BEBC0180
	v_readlane_b32 s82, v3, 36                                 // 0000000140DC: D2890052 00014903
	s_and_b32 s82, s82, 0xffffff                               // 0000000140E4: 8652FF52 00FFFFFF
	s_cmp_lt_u32 s82, s66                                      // 0000000140EC: BF0A4252
	s_cselect_b32 s20, s36, s60                                // 0000000140F0: 85143C24
	v_readlane_b32 s82, v3, 37                                 // 0000000140F4: D2890052 00014B03
	s_and_b32 s82, s82, 0xffffff                               // 0000000140FC: 8652FF52 00FFFFFF
	s_cmp_lt_u32 s82, s66                                      // 000000014104: BF0A4252
	s_cselect_b32 s21, s36, s60                                // 000000014108: 85153C24
	s_mov_b64 exec, s[20:21]                                   // 00000001410C: BEFE0114
	global_atomic_add_f32 v6, v166, s[8:9] offset:8            // 000000014110: DD348008 0008A606
	global_atomic_add_f32 v6, v170, s[8:9] offset:264          // 000000014118: DD348108 0008AA06
	s_mov_b64 exec, s[36:37]                                   // 000000014120: BEFE0124
	v_mov_b32_e32 v6, v89                                      // 000000014124: 7E0C0359
	s_mov_b64 s[60:61], 0                                      // 000000014128: BEBC0180
	v_readlane_b32 s82, v3, 38                                 // 00000001412C: D2890052 00014D03
	s_and_b32 s82, s82, 0xffffff                               // 000000014134: 8652FF52 00FFFFFF
	s_cmp_lt_u32 s82, s66                                      // 00000001413C: BF0A4252
	s_cselect_b32 s20, s36, s60                                // 000000014140: 85143C24
	v_readlane_b32 s82, v3, 39                                 // 000000014144: D2890052 00014F03
	s_and_b32 s82, s82, 0xffffff                               // 00000001414C: 8652FF52 00FFFFFF
	s_cmp_lt_u32 s82, s66                                      // 000000014154: BF0A4252
	s_cselect_b32 s21, s36, s60                                // 000000014158: 85153C24
	s_mov_b64 exec, s[20:21]                                   // 00000001415C: BEFE0114
	global_atomic_add_f32 v6, v167, s[8:9] offset:8            // 000000014160: DD348008 0008A706
	global_atomic_add_f32 v6, v171, s[8:9] offset:264          // 000000014168: DD348108 0008AB06
	s_mov_b64 exec, s[36:37]                                   // 000000014170: BEFE0124
	ds_write_b64 v20, v[172:173]                               // 000000014174: D89A0000 0000AC14
	ds_write_b64 v20, v[176:177] offset:4352                   // 00000001417C: D89A1100 0000B014
	ds_write_b64 v20, v[180:181] offset:8704                   // 000000014184: D89A2200 0000B414
	ds_write_b64 v20, v[184:185] offset:13056                  // 00000001418C: D89A3300 0000B814
	ds_write_b64 v20, v[188:189] offset:17408                  // 000000014194: D89A4400 0000BC14
	ds_write_b64 v20, v[192:193] offset:21760                  // 00000001419C: D89A5500 0000C014
	ds_write_b64 v20, v[196:197] offset:26112                  // 0000000141A4: D89A6600 0000C414
	ds_write_b64 v20, v[200:201] offset:30464                  // 0000000141AC: D89A7700 0000C814
	ds_write_b64 v20, v[204:205] offset:34816                  // 0000000141B4: D89A8800 0000CC14
	ds_write_b64 v20, v[208:209] offset:39168                  // 0000000141BC: D89A9900 0000D014
	ds_write_b64 v20, v[212:213] offset:2176                   // 0000000141C4: D89A0880 0000D414
	ds_write_b64 v20, v[216:217] offset:6528                   // 0000000141CC: D89A1980 0000D814
	ds_write_b64 v20, v[220:221] offset:10880                  // 0000000141D4: D89A2A80 0000DC14
	ds_write_b64 v20, v[224:225] offset:15232                  // 0000000141DC: D89A3B80 0000E014
	ds_write_b64 v20, v[228:229] offset:19584                  // 0000000141E4: D89A4C80 0000E414
	ds_write_b64 v20, v[232:233] offset:23936                  // 0000000141EC: D89A5D80 0000E814
	ds_write_b64 v20, v[236:237] offset:28288                  // 0000000141F4: D89A6E80 0000EC14
	ds_write_b64 v20, v[240:241] offset:32640                  // 0000000141FC: D89A7F80 0000F014
	ds_write_b64 v20, v[244:245] offset:36992                  // 000000014204: D89A9080 0000F414
	ds_write_b64 v20, v[248:249] offset:41344                  // 00000001420C: D89AA180 0000F814
	s_waitcnt lgkmcnt(0)                                       // 000000014214: BF8CC07F
	s_barrier                                                  // 000000014218: BF8A0000
	ds_read_b32 v172, v21                                      // 00000001421C: D86C0000 AC000015
	ds_read_b32 v173, v21 offset:64                            // 000000014224: D86C0040 AD000015
	ds_read_b32 v176, v21 offset:2176                          // 00000001422C: D86C0880 B0000015
	ds_read_b32 v177, v21 offset:2240                          // 000000014234: D86C08C0 B1000015
	ds_read_b32 v180, v21 offset:4352                          // 00000001423C: D86C1100 B4000015
	ds_read_b32 v181, v21 offset:4416                          // 000000014244: D86C1140 B5000015
	ds_read_b32 v184, v21 offset:6528                          // 00000001424C: D86C1980 B8000015
	ds_read_b32 v185, v21 offset:6592                          // 000000014254: D86C19C0 B9000015
	ds_read_b32 v188, v21 offset:8704                          // 00000001425C: D86C2200 BC000015
	ds_read_b32 v189, v21 offset:8768                          // 000000014264: D86C2240 BD000015
	ds_read_b32 v192, v21 offset:10880                         // 00000001426C: D86C2A80 C0000015
	ds_read_b32 v193, v21 offset:10944                         // 000000014274: D86C2AC0 C1000015
	ds_read_b32 v196, v21 offset:13056                         // 00000001427C: D86C3300 C4000015
	ds_read_b32 v197, v21 offset:13120                         // 000000014284: D86C3340 C5000015
	ds_read_b32 v200, v21 offset:15232                         // 00000001428C: D86C3B80 C8000015
	ds_read_b32 v201, v21 offset:15296                         // 000000014294: D86C3BC0 C9000015
	ds_read_b32 v204, v21 offset:17408                         // 00000001429C: D86C4400 CC000015
	ds_read_b32 v205, v21 offset:17472                         // 0000000142A4: D86C4440 CD000015
	ds_read_b32 v208, v21 offset:19584                         // 0000000142AC: D86C4C80 D0000015
	ds_read_b32 v209, v21 offset:19648                         // 0000000142B4: D86C4CC0 D1000015
	ds_read_b32 v212, v21 offset:21760                         // 0000000142BC: D86C5500 D4000015
	ds_read_b32 v213, v21 offset:21824                         // 0000000142C4: D86C5540 D5000015
	ds_read_b32 v216, v21 offset:23936                         // 0000000142CC: D86C5D80 D8000015
	ds_read_b32 v217, v21 offset:24000                         // 0000000142D4: D86C5DC0 D9000015
	ds_read_b32 v220, v21 offset:26112                         // 0000000142DC: D86C6600 DC000015
	ds_read_b32 v221, v21 offset:26176                         // 0000000142E4: D86C6640 DD000015
	ds_read_b32 v224, v21 offset:28288                         // 0000000142EC: D86C6E80 E0000015
	ds_read_b32 v225, v21 offset:28352                         // 0000000142F4: D86C6EC0 E1000015
	ds_read_b32 v228, v21 offset:30464                         // 0000000142FC: D86C7700 E4000015
	ds_read_b32 v229, v21 offset:30528                         // 000000014304: D86C7740 E5000015
	ds_read_b32 v232, v21 offset:32640                         // 00000001430C: D86C7F80 E8000015
	ds_read_b32 v233, v21 offset:32704                         // 000000014314: D86C7FC0 E9000015
	ds_read_b32 v236, v21 offset:34816                         // 00000001431C: D86C8800 EC000015
	ds_read_b32 v237, v21 offset:34880                         // 000000014324: D86C8840 ED000015
	ds_read_b32 v240, v21 offset:36992                         // 00000001432C: D86C9080 F0000015
	ds_read_b32 v241, v21 offset:37056                         // 000000014334: D86C90C0 F1000015
	ds_read_b32 v244, v21 offset:39168                         // 00000001433C: D86C9900 F4000015
	ds_read_b32 v245, v21 offset:39232                         // 000000014344: D86C9940 F5000015
	ds_read_b32 v248, v21 offset:41344                         // 00000001434C: D86CA180 F8000015
	ds_read_b32 v249, v21 offset:41408                         // 000000014354: D86CA1C0 F9000015
	s_mul_i32 s60, s65, 4                                      // 00000001435C: 923C8441
	s_add_u32 s8, s60, s8                                      // 000000014360: 8008083C
	s_addc_u32 s9, 0, s9                                       // 000000014364: 82090980
	s_waitcnt lgkmcnt(0)                                       // 000000014368: BF8CC07F
	v_mov_b32_e32 v7, 0                                        // 00000001436C: 7E0E0280
	s_mov_b64 exec, s[36:37]                                   // 000000014370: BEFE0124
	v_mov_b32_e32 v6, v70                                      // 000000014374: 7E0C0346
	s_mov_b64 s[60:61], 0                                      // 000000014378: BEBC0180
	v_readlane_b32 s82, v3, 0                                  // 00000001437C: D2890052 00010103
	s_and_b32 s82, s82, 0xffffff                               // 000000014384: 8652FF52 00FFFFFF
	s_cmp_lt_u32 s82, s66                                      // 00000001438C: BF0A4252
	s_cselect_b32 s20, s36, s60                                // 000000014390: 85143C24
	v_readlane_b32 s82, v3, 1                                  // 000000014394: D2890052 00010303
	s_and_b32 s82, s82, 0xffffff                               // 00000001439C: 8652FF52 00FFFFFF
	s_cmp_lt_u32 s82, s66                                      // 0000000143A4: BF0A4252
	s_cselect_b32 s21, s36, s60                                // 0000000143A8: 85153C24
	s_mov_b64 exec, s[20:21]                                   // 0000000143AC: BEFE0114
	global_atomic_add_f32 v6, v172, s[8:9]                     // 0000000143B0: DD348000 0008AC06
	global_atomic_add_f32 v6, v176, s[8:9] offset:256          // 0000000143B8: DD348100 0008B006
	s_mov_b64 exec, s[36:37]                                   // 0000000143C0: BEFE0124
	v_mov_b32_e32 v6, v71                                      // 0000000143C4: 7E0C0347
	s_mov_b64 s[60:61], 0                                      // 0000000143C8: BEBC0180
	v_readlane_b32 s82, v3, 2                                  // 0000000143CC: D2890052 00010503
	s_and_b32 s82, s82, 0xffffff                               // 0000000143D4: 8652FF52 00FFFFFF
	s_cmp_lt_u32 s82, s66                                      // 0000000143DC: BF0A4252
	s_cselect_b32 s20, s36, s60                                // 0000000143E0: 85143C24
	v_readlane_b32 s82, v3, 3                                  // 0000000143E4: D2890052 00010703
	s_and_b32 s82, s82, 0xffffff                               // 0000000143EC: 8652FF52 00FFFFFF
	s_cmp_lt_u32 s82, s66                                      // 0000000143F4: BF0A4252
	s_cselect_b32 s21, s36, s60                                // 0000000143F8: 85153C24
	s_mov_b64 exec, s[20:21]                                   // 0000000143FC: BEFE0114
	global_atomic_add_f32 v6, v173, s[8:9]                     // 000000014400: DD348000 0008AD06
	global_atomic_add_f32 v6, v177, s[8:9] offset:256          // 000000014408: DD348100 0008B106
	s_mov_b64 exec, s[36:37]                                   // 000000014410: BEFE0124
	v_mov_b32_e32 v6, v72                                      // 000000014414: 7E0C0348
	s_mov_b64 s[60:61], 0                                      // 000000014418: BEBC0180
	v_readlane_b32 s82, v3, 4                                  // 00000001441C: D2890052 00010903
	s_and_b32 s82, s82, 0xffffff                               // 000000014424: 8652FF52 00FFFFFF
	s_cmp_lt_u32 s82, s66                                      // 00000001442C: BF0A4252
	s_cselect_b32 s20, s36, s60                                // 000000014430: 85143C24
	v_readlane_b32 s82, v3, 5                                  // 000000014434: D2890052 00010B03
	s_and_b32 s82, s82, 0xffffff                               // 00000001443C: 8652FF52 00FFFFFF
	s_cmp_lt_u32 s82, s66                                      // 000000014444: BF0A4252
	s_cselect_b32 s21, s36, s60                                // 000000014448: 85153C24
	s_mov_b64 exec, s[20:21]                                   // 00000001444C: BEFE0114
	global_atomic_add_f32 v6, v180, s[8:9]                     // 000000014450: DD348000 0008B406
	global_atomic_add_f32 v6, v184, s[8:9] offset:256          // 000000014458: DD348100 0008B806
	s_mov_b64 exec, s[36:37]                                   // 000000014460: BEFE0124
	v_mov_b32_e32 v6, v73                                      // 000000014464: 7E0C0349
	s_mov_b64 s[60:61], 0                                      // 000000014468: BEBC0180
	v_readlane_b32 s82, v3, 6                                  // 00000001446C: D2890052 00010D03
	s_and_b32 s82, s82, 0xffffff                               // 000000014474: 8652FF52 00FFFFFF
	s_cmp_lt_u32 s82, s66                                      // 00000001447C: BF0A4252
	s_cselect_b32 s20, s36, s60                                // 000000014480: 85143C24
	v_readlane_b32 s82, v3, 7                                  // 000000014484: D2890052 00010F03
	s_and_b32 s82, s82, 0xffffff                               // 00000001448C: 8652FF52 00FFFFFF
	s_cmp_lt_u32 s82, s66                                      // 000000014494: BF0A4252
	s_cselect_b32 s21, s36, s60                                // 000000014498: 85153C24
	s_mov_b64 exec, s[20:21]                                   // 00000001449C: BEFE0114
	global_atomic_add_f32 v6, v181, s[8:9]                     // 0000000144A0: DD348000 0008B506
	global_atomic_add_f32 v6, v185, s[8:9] offset:256          // 0000000144A8: DD348100 0008B906
	s_mov_b64 exec, s[36:37]                                   // 0000000144B0: BEFE0124
	v_mov_b32_e32 v6, v74                                      // 0000000144B4: 7E0C034A
	s_mov_b64 s[60:61], 0                                      // 0000000144B8: BEBC0180
	v_readlane_b32 s82, v3, 8                                  // 0000000144BC: D2890052 00011103
	s_and_b32 s82, s82, 0xffffff                               // 0000000144C4: 8652FF52 00FFFFFF
	s_cmp_lt_u32 s82, s66                                      // 0000000144CC: BF0A4252
	s_cselect_b32 s20, s36, s60                                // 0000000144D0: 85143C24
	v_readlane_b32 s82, v3, 9                                  // 0000000144D4: D2890052 00011303
	s_and_b32 s82, s82, 0xffffff                               // 0000000144DC: 8652FF52 00FFFFFF
	s_cmp_lt_u32 s82, s66                                      // 0000000144E4: BF0A4252
	s_cselect_b32 s21, s36, s60                                // 0000000144E8: 85153C24
	s_mov_b64 exec, s[20:21]                                   // 0000000144EC: BEFE0114
	global_atomic_add_f32 v6, v188, s[8:9]                     // 0000000144F0: DD348000 0008BC06
	global_atomic_add_f32 v6, v192, s[8:9] offset:256          // 0000000144F8: DD348100 0008C006
	s_mov_b64 exec, s[36:37]                                   // 000000014500: BEFE0124
	v_mov_b32_e32 v6, v75                                      // 000000014504: 7E0C034B
	s_mov_b64 s[60:61], 0                                      // 000000014508: BEBC0180
	v_readlane_b32 s82, v3, 10                                 // 00000001450C: D2890052 00011503
	s_and_b32 s82, s82, 0xffffff                               // 000000014514: 8652FF52 00FFFFFF
	s_cmp_lt_u32 s82, s66                                      // 00000001451C: BF0A4252
	s_cselect_b32 s20, s36, s60                                // 000000014520: 85143C24
	v_readlane_b32 s82, v3, 11                                 // 000000014524: D2890052 00011703
	s_and_b32 s82, s82, 0xffffff                               // 00000001452C: 8652FF52 00FFFFFF
	s_cmp_lt_u32 s82, s66                                      // 000000014534: BF0A4252
	s_cselect_b32 s21, s36, s60                                // 000000014538: 85153C24
	s_mov_b64 exec, s[20:21]                                   // 00000001453C: BEFE0114
	global_atomic_add_f32 v6, v189, s[8:9]                     // 000000014540: DD348000 0008BD06
	global_atomic_add_f32 v6, v193, s[8:9] offset:256          // 000000014548: DD348100 0008C106
	s_mov_b64 exec, s[36:37]                                   // 000000014550: BEFE0124
	v_mov_b32_e32 v6, v76                                      // 000000014554: 7E0C034C
	s_mov_b64 s[60:61], 0                                      // 000000014558: BEBC0180
	v_readlane_b32 s82, v3, 12                                 // 00000001455C: D2890052 00011903
	s_and_b32 s82, s82, 0xffffff                               // 000000014564: 8652FF52 00FFFFFF
	s_cmp_lt_u32 s82, s66                                      // 00000001456C: BF0A4252
	s_cselect_b32 s20, s36, s60                                // 000000014570: 85143C24
	v_readlane_b32 s82, v3, 13                                 // 000000014574: D2890052 00011B03
	s_and_b32 s82, s82, 0xffffff                               // 00000001457C: 8652FF52 00FFFFFF
	s_cmp_lt_u32 s82, s66                                      // 000000014584: BF0A4252
	s_cselect_b32 s21, s36, s60                                // 000000014588: 85153C24
	s_mov_b64 exec, s[20:21]                                   // 00000001458C: BEFE0114
	global_atomic_add_f32 v6, v196, s[8:9]                     // 000000014590: DD348000 0008C406
	global_atomic_add_f32 v6, v200, s[8:9] offset:256          // 000000014598: DD348100 0008C806
	s_mov_b64 exec, s[36:37]                                   // 0000000145A0: BEFE0124
	v_mov_b32_e32 v6, v77                                      // 0000000145A4: 7E0C034D
	s_mov_b64 s[60:61], 0                                      // 0000000145A8: BEBC0180
	v_readlane_b32 s82, v3, 14                                 // 0000000145AC: D2890052 00011D03
	s_and_b32 s82, s82, 0xffffff                               // 0000000145B4: 8652FF52 00FFFFFF
	s_cmp_lt_u32 s82, s66                                      // 0000000145BC: BF0A4252
	s_cselect_b32 s20, s36, s60                                // 0000000145C0: 85143C24
	v_readlane_b32 s82, v3, 15                                 // 0000000145C4: D2890052 00011F03
	s_and_b32 s82, s82, 0xffffff                               // 0000000145CC: 8652FF52 00FFFFFF
	s_cmp_lt_u32 s82, s66                                      // 0000000145D4: BF0A4252
	s_cselect_b32 s21, s36, s60                                // 0000000145D8: 85153C24
	s_mov_b64 exec, s[20:21]                                   // 0000000145DC: BEFE0114
	global_atomic_add_f32 v6, v197, s[8:9]                     // 0000000145E0: DD348000 0008C506
	global_atomic_add_f32 v6, v201, s[8:9] offset:256          // 0000000145E8: DD348100 0008C906
	s_mov_b64 exec, s[36:37]                                   // 0000000145F0: BEFE0124
	v_mov_b32_e32 v6, v78                                      // 0000000145F4: 7E0C034E
	s_mov_b64 s[60:61], 0                                      // 0000000145F8: BEBC0180
	v_readlane_b32 s82, v3, 16                                 // 0000000145FC: D2890052 00012103
	s_and_b32 s82, s82, 0xffffff                               // 000000014604: 8652FF52 00FFFFFF
	s_cmp_lt_u32 s82, s66                                      // 00000001460C: BF0A4252
	s_cselect_b32 s20, s36, s60                                // 000000014610: 85143C24
	v_readlane_b32 s82, v3, 17                                 // 000000014614: D2890052 00012303
	s_and_b32 s82, s82, 0xffffff                               // 00000001461C: 8652FF52 00FFFFFF
	s_cmp_lt_u32 s82, s66                                      // 000000014624: BF0A4252
	s_cselect_b32 s21, s36, s60                                // 000000014628: 85153C24
	s_mov_b64 exec, s[20:21]                                   // 00000001462C: BEFE0114
	global_atomic_add_f32 v6, v204, s[8:9]                     // 000000014630: DD348000 0008CC06
	global_atomic_add_f32 v6, v208, s[8:9] offset:256          // 000000014638: DD348100 0008D006
	s_mov_b64 exec, s[36:37]                                   // 000000014640: BEFE0124
	v_mov_b32_e32 v6, v79                                      // 000000014644: 7E0C034F
	s_mov_b64 s[60:61], 0                                      // 000000014648: BEBC0180
	v_readlane_b32 s82, v3, 18                                 // 00000001464C: D2890052 00012503
	s_and_b32 s82, s82, 0xffffff                               // 000000014654: 8652FF52 00FFFFFF
	s_cmp_lt_u32 s82, s66                                      // 00000001465C: BF0A4252
	s_cselect_b32 s20, s36, s60                                // 000000014660: 85143C24
	v_readlane_b32 s82, v3, 19                                 // 000000014664: D2890052 00012703
	s_and_b32 s82, s82, 0xffffff                               // 00000001466C: 8652FF52 00FFFFFF
	s_cmp_lt_u32 s82, s66                                      // 000000014674: BF0A4252
	s_cselect_b32 s21, s36, s60                                // 000000014678: 85153C24
	s_mov_b64 exec, s[20:21]                                   // 00000001467C: BEFE0114
	global_atomic_add_f32 v6, v205, s[8:9]                     // 000000014680: DD348000 0008CD06
	global_atomic_add_f32 v6, v209, s[8:9] offset:256          // 000000014688: DD348100 0008D106
	s_mov_b64 exec, s[36:37]                                   // 000000014690: BEFE0124
	v_mov_b32_e32 v6, v80                                      // 000000014694: 7E0C0350
	s_mov_b64 s[60:61], 0                                      // 000000014698: BEBC0180
	v_readlane_b32 s82, v3, 20                                 // 00000001469C: D2890052 00012903
	s_and_b32 s82, s82, 0xffffff                               // 0000000146A4: 8652FF52 00FFFFFF
	s_cmp_lt_u32 s82, s66                                      // 0000000146AC: BF0A4252
	s_cselect_b32 s20, s36, s60                                // 0000000146B0: 85143C24
	v_readlane_b32 s82, v3, 21                                 // 0000000146B4: D2890052 00012B03
	s_and_b32 s82, s82, 0xffffff                               // 0000000146BC: 8652FF52 00FFFFFF
	s_cmp_lt_u32 s82, s66                                      // 0000000146C4: BF0A4252
	s_cselect_b32 s21, s36, s60                                // 0000000146C8: 85153C24
	s_mov_b64 exec, s[20:21]                                   // 0000000146CC: BEFE0114
	global_atomic_add_f32 v6, v212, s[8:9]                     // 0000000146D0: DD348000 0008D406
	global_atomic_add_f32 v6, v216, s[8:9] offset:256          // 0000000146D8: DD348100 0008D806
	s_mov_b64 exec, s[36:37]                                   // 0000000146E0: BEFE0124
	v_mov_b32_e32 v6, v81                                      // 0000000146E4: 7E0C0351
	s_mov_b64 s[60:61], 0                                      // 0000000146E8: BEBC0180
	v_readlane_b32 s82, v3, 22                                 // 0000000146EC: D2890052 00012D03
	s_and_b32 s82, s82, 0xffffff                               // 0000000146F4: 8652FF52 00FFFFFF
	s_cmp_lt_u32 s82, s66                                      // 0000000146FC: BF0A4252
	s_cselect_b32 s20, s36, s60                                // 000000014700: 85143C24
	v_readlane_b32 s82, v3, 23                                 // 000000014704: D2890052 00012F03
	s_and_b32 s82, s82, 0xffffff                               // 00000001470C: 8652FF52 00FFFFFF
	s_cmp_lt_u32 s82, s66                                      // 000000014714: BF0A4252
	s_cselect_b32 s21, s36, s60                                // 000000014718: 85153C24
	s_mov_b64 exec, s[20:21]                                   // 00000001471C: BEFE0114
	global_atomic_add_f32 v6, v213, s[8:9]                     // 000000014720: DD348000 0008D506
	global_atomic_add_f32 v6, v217, s[8:9] offset:256          // 000000014728: DD348100 0008D906
	s_mov_b64 exec, s[36:37]                                   // 000000014730: BEFE0124
	v_mov_b32_e32 v6, v82                                      // 000000014734: 7E0C0352
	s_mov_b64 s[60:61], 0                                      // 000000014738: BEBC0180
	v_readlane_b32 s82, v3, 24                                 // 00000001473C: D2890052 00013103
	s_and_b32 s82, s82, 0xffffff                               // 000000014744: 8652FF52 00FFFFFF
	s_cmp_lt_u32 s82, s66                                      // 00000001474C: BF0A4252
	s_cselect_b32 s20, s36, s60                                // 000000014750: 85143C24
	v_readlane_b32 s82, v3, 25                                 // 000000014754: D2890052 00013303
	s_and_b32 s82, s82, 0xffffff                               // 00000001475C: 8652FF52 00FFFFFF
	s_cmp_lt_u32 s82, s66                                      // 000000014764: BF0A4252
	s_cselect_b32 s21, s36, s60                                // 000000014768: 85153C24
	s_mov_b64 exec, s[20:21]                                   // 00000001476C: BEFE0114
	global_atomic_add_f32 v6, v220, s[8:9]                     // 000000014770: DD348000 0008DC06
	global_atomic_add_f32 v6, v224, s[8:9] offset:256          // 000000014778: DD348100 0008E006
	s_mov_b64 exec, s[36:37]                                   // 000000014780: BEFE0124
	v_mov_b32_e32 v6, v83                                      // 000000014784: 7E0C0353
	s_mov_b64 s[60:61], 0                                      // 000000014788: BEBC0180
	v_readlane_b32 s82, v3, 26                                 // 00000001478C: D2890052 00013503
	s_and_b32 s82, s82, 0xffffff                               // 000000014794: 8652FF52 00FFFFFF
	s_cmp_lt_u32 s82, s66                                      // 00000001479C: BF0A4252
	s_cselect_b32 s20, s36, s60                                // 0000000147A0: 85143C24
	v_readlane_b32 s82, v3, 27                                 // 0000000147A4: D2890052 00013703
	s_and_b32 s82, s82, 0xffffff                               // 0000000147AC: 8652FF52 00FFFFFF
	s_cmp_lt_u32 s82, s66                                      // 0000000147B4: BF0A4252
	s_cselect_b32 s21, s36, s60                                // 0000000147B8: 85153C24
	s_mov_b64 exec, s[20:21]                                   // 0000000147BC: BEFE0114
	global_atomic_add_f32 v6, v221, s[8:9]                     // 0000000147C0: DD348000 0008DD06
	global_atomic_add_f32 v6, v225, s[8:9] offset:256          // 0000000147C8: DD348100 0008E106
	s_mov_b64 exec, s[36:37]                                   // 0000000147D0: BEFE0124
	v_mov_b32_e32 v6, v84                                      // 0000000147D4: 7E0C0354
	s_mov_b64 s[60:61], 0                                      // 0000000147D8: BEBC0180
	v_readlane_b32 s82, v3, 28                                 // 0000000147DC: D2890052 00013903
	s_and_b32 s82, s82, 0xffffff                               // 0000000147E4: 8652FF52 00FFFFFF
	s_cmp_lt_u32 s82, s66                                      // 0000000147EC: BF0A4252
	s_cselect_b32 s20, s36, s60                                // 0000000147F0: 85143C24
	v_readlane_b32 s82, v3, 29                                 // 0000000147F4: D2890052 00013B03
	s_and_b32 s82, s82, 0xffffff                               // 0000000147FC: 8652FF52 00FFFFFF
	s_cmp_lt_u32 s82, s66                                      // 000000014804: BF0A4252
	s_cselect_b32 s21, s36, s60                                // 000000014808: 85153C24
	s_mov_b64 exec, s[20:21]                                   // 00000001480C: BEFE0114
	global_atomic_add_f32 v6, v228, s[8:9]                     // 000000014810: DD348000 0008E406
	global_atomic_add_f32 v6, v232, s[8:9] offset:256          // 000000014818: DD348100 0008E806
	s_mov_b64 exec, s[36:37]                                   // 000000014820: BEFE0124
	v_mov_b32_e32 v6, v85                                      // 000000014824: 7E0C0355
	s_mov_b64 s[60:61], 0                                      // 000000014828: BEBC0180
	v_readlane_b32 s82, v3, 30                                 // 00000001482C: D2890052 00013D03
	s_and_b32 s82, s82, 0xffffff                               // 000000014834: 8652FF52 00FFFFFF
	s_cmp_lt_u32 s82, s66                                      // 00000001483C: BF0A4252
	s_cselect_b32 s20, s36, s60                                // 000000014840: 85143C24
	v_readlane_b32 s82, v3, 31                                 // 000000014844: D2890052 00013F03
	s_and_b32 s82, s82, 0xffffff                               // 00000001484C: 8652FF52 00FFFFFF
	s_cmp_lt_u32 s82, s66                                      // 000000014854: BF0A4252
	s_cselect_b32 s21, s36, s60                                // 000000014858: 85153C24
	s_mov_b64 exec, s[20:21]                                   // 00000001485C: BEFE0114
	global_atomic_add_f32 v6, v229, s[8:9]                     // 000000014860: DD348000 0008E506
	global_atomic_add_f32 v6, v233, s[8:9] offset:256          // 000000014868: DD348100 0008E906
	s_mov_b64 exec, s[36:37]                                   // 000000014870: BEFE0124
	v_mov_b32_e32 v6, v86                                      // 000000014874: 7E0C0356
	s_mov_b64 s[60:61], 0                                      // 000000014878: BEBC0180
	v_readlane_b32 s82, v3, 32                                 // 00000001487C: D2890052 00014103
	s_and_b32 s82, s82, 0xffffff                               // 000000014884: 8652FF52 00FFFFFF
	s_cmp_lt_u32 s82, s66                                      // 00000001488C: BF0A4252
	s_cselect_b32 s20, s36, s60                                // 000000014890: 85143C24
	v_readlane_b32 s82, v3, 33                                 // 000000014894: D2890052 00014303
	s_and_b32 s82, s82, 0xffffff                               // 00000001489C: 8652FF52 00FFFFFF
	s_cmp_lt_u32 s82, s66                                      // 0000000148A4: BF0A4252
	s_cselect_b32 s21, s36, s60                                // 0000000148A8: 85153C24
	s_mov_b64 exec, s[20:21]                                   // 0000000148AC: BEFE0114
	global_atomic_add_f32 v6, v236, s[8:9]                     // 0000000148B0: DD348000 0008EC06
	global_atomic_add_f32 v6, v240, s[8:9] offset:256          // 0000000148B8: DD348100 0008F006
	s_mov_b64 exec, s[36:37]                                   // 0000000148C0: BEFE0124
	v_mov_b32_e32 v6, v87                                      // 0000000148C4: 7E0C0357
	s_mov_b64 s[60:61], 0                                      // 0000000148C8: BEBC0180
	v_readlane_b32 s82, v3, 34                                 // 0000000148CC: D2890052 00014503
	s_and_b32 s82, s82, 0xffffff                               // 0000000148D4: 8652FF52 00FFFFFF
	s_cmp_lt_u32 s82, s66                                      // 0000000148DC: BF0A4252
	s_cselect_b32 s20, s36, s60                                // 0000000148E0: 85143C24
	v_readlane_b32 s82, v3, 35                                 // 0000000148E4: D2890052 00014703
	s_and_b32 s82, s82, 0xffffff                               // 0000000148EC: 8652FF52 00FFFFFF
	s_cmp_lt_u32 s82, s66                                      // 0000000148F4: BF0A4252
	s_cselect_b32 s21, s36, s60                                // 0000000148F8: 85153C24
	s_mov_b64 exec, s[20:21]                                   // 0000000148FC: BEFE0114
	global_atomic_add_f32 v6, v237, s[8:9]                     // 000000014900: DD348000 0008ED06
	global_atomic_add_f32 v6, v241, s[8:9] offset:256          // 000000014908: DD348100 0008F106
	s_mov_b64 exec, s[36:37]                                   // 000000014910: BEFE0124
	v_mov_b32_e32 v6, v88                                      // 000000014914: 7E0C0358
	s_mov_b64 s[60:61], 0                                      // 000000014918: BEBC0180
	v_readlane_b32 s82, v3, 36                                 // 00000001491C: D2890052 00014903
	s_and_b32 s82, s82, 0xffffff                               // 000000014924: 8652FF52 00FFFFFF
	s_cmp_lt_u32 s82, s66                                      // 00000001492C: BF0A4252
	s_cselect_b32 s20, s36, s60                                // 000000014930: 85143C24
	v_readlane_b32 s82, v3, 37                                 // 000000014934: D2890052 00014B03
	s_and_b32 s82, s82, 0xffffff                               // 00000001493C: 8652FF52 00FFFFFF
	s_cmp_lt_u32 s82, s66                                      // 000000014944: BF0A4252
	s_cselect_b32 s21, s36, s60                                // 000000014948: 85153C24
	s_mov_b64 exec, s[20:21]                                   // 00000001494C: BEFE0114
	global_atomic_add_f32 v6, v244, s[8:9]                     // 000000014950: DD348000 0008F406
	global_atomic_add_f32 v6, v248, s[8:9] offset:256          // 000000014958: DD348100 0008F806
	s_mov_b64 exec, s[36:37]                                   // 000000014960: BEFE0124
	v_mov_b32_e32 v6, v89                                      // 000000014964: 7E0C0359
	s_mov_b64 s[60:61], 0                                      // 000000014968: BEBC0180
	v_readlane_b32 s82, v3, 38                                 // 00000001496C: D2890052 00014D03
	s_and_b32 s82, s82, 0xffffff                               // 000000014974: 8652FF52 00FFFFFF
	s_cmp_lt_u32 s82, s66                                      // 00000001497C: BF0A4252
	s_cselect_b32 s20, s36, s60                                // 000000014980: 85143C24
	v_readlane_b32 s82, v3, 39                                 // 000000014984: D2890052 00014F03
	s_and_b32 s82, s82, 0xffffff                               // 00000001498C: 8652FF52 00FFFFFF
	s_cmp_lt_u32 s82, s66                                      // 000000014994: BF0A4252
	s_cselect_b32 s21, s36, s60                                // 000000014998: 85153C24
	s_mov_b64 exec, s[20:21]                                   // 00000001499C: BEFE0114
	global_atomic_add_f32 v6, v245, s[8:9]                     // 0000000149A0: DD348000 0008F506
	global_atomic_add_f32 v6, v249, s[8:9] offset:256          // 0000000149A8: DD348100 0008F906
	s_mov_b64 exec, s[36:37]                                   // 0000000149B0: BEFE0124
	ds_write_b64 v20, v[174:175]                               // 0000000149B4: D89A0000 0000AE14
	ds_write_b64 v20, v[178:179] offset:4352                   // 0000000149BC: D89A1100 0000B214
	ds_write_b64 v20, v[182:183] offset:8704                   // 0000000149C4: D89A2200 0000B614
	ds_write_b64 v20, v[186:187] offset:13056                  // 0000000149CC: D89A3300 0000BA14
	ds_write_b64 v20, v[190:191] offset:17408                  // 0000000149D4: D89A4400 0000BE14
	ds_write_b64 v20, v[194:195] offset:21760                  // 0000000149DC: D89A5500 0000C214
	ds_write_b64 v20, v[198:199] offset:26112                  // 0000000149E4: D89A6600 0000C614
	ds_write_b64 v20, v[202:203] offset:30464                  // 0000000149EC: D89A7700 0000CA14
	ds_write_b64 v20, v[206:207] offset:34816                  // 0000000149F4: D89A8800 0000CE14
	ds_write_b64 v20, v[210:211] offset:39168                  // 0000000149FC: D89A9900 0000D214
	ds_write_b64 v20, v[214:215] offset:2176                   // 000000014A04: D89A0880 0000D614
	ds_write_b64 v20, v[218:219] offset:6528                   // 000000014A0C: D89A1980 0000DA14
	ds_write_b64 v20, v[222:223] offset:10880                  // 000000014A14: D89A2A80 0000DE14
	ds_write_b64 v20, v[226:227] offset:15232                  // 000000014A1C: D89A3B80 0000E214
	ds_write_b64 v20, v[230:231] offset:19584                  // 000000014A24: D89A4C80 0000E614
	ds_write_b64 v20, v[234:235] offset:23936                  // 000000014A2C: D89A5D80 0000EA14
	ds_write_b64 v20, v[238:239] offset:28288                  // 000000014A34: D89A6E80 0000EE14
	ds_write_b64 v20, v[242:243] offset:32640                  // 000000014A3C: D89A7F80 0000F214
	ds_write_b64 v20, v[246:247] offset:36992                  // 000000014A44: D89A9080 0000F614
	ds_write_b64 v20, v[250:251] offset:41344                  // 000000014A4C: D89AA180 0000FA14
	s_waitcnt lgkmcnt(0)                                       // 000000014A54: BF8CC07F
	s_barrier                                                  // 000000014A58: BF8A0000
	ds_read_b32 v174, v21                                      // 000000014A5C: D86C0000 AE000015
	ds_read_b32 v175, v21 offset:64                            // 000000014A64: D86C0040 AF000015
	ds_read_b32 v178, v21 offset:2176                          // 000000014A6C: D86C0880 B2000015
	ds_read_b32 v179, v21 offset:2240                          // 000000014A74: D86C08C0 B3000015
	ds_read_b32 v182, v21 offset:4352                          // 000000014A7C: D86C1100 B6000015
	ds_read_b32 v183, v21 offset:4416                          // 000000014A84: D86C1140 B7000015
	ds_read_b32 v186, v21 offset:6528                          // 000000014A8C: D86C1980 BA000015
	ds_read_b32 v187, v21 offset:6592                          // 000000014A94: D86C19C0 BB000015
	ds_read_b32 v190, v21 offset:8704                          // 000000014A9C: D86C2200 BE000015
	ds_read_b32 v191, v21 offset:8768                          // 000000014AA4: D86C2240 BF000015
	ds_read_b32 v194, v21 offset:10880                         // 000000014AAC: D86C2A80 C2000015
	ds_read_b32 v195, v21 offset:10944                         // 000000014AB4: D86C2AC0 C3000015
	ds_read_b32 v198, v21 offset:13056                         // 000000014ABC: D86C3300 C6000015
	ds_read_b32 v199, v21 offset:13120                         // 000000014AC4: D86C3340 C7000015
	ds_read_b32 v202, v21 offset:15232                         // 000000014ACC: D86C3B80 CA000015
	ds_read_b32 v203, v21 offset:15296                         // 000000014AD4: D86C3BC0 CB000015
	ds_read_b32 v206, v21 offset:17408                         // 000000014ADC: D86C4400 CE000015
	ds_read_b32 v207, v21 offset:17472                         // 000000014AE4: D86C4440 CF000015
	ds_read_b32 v210, v21 offset:19584                         // 000000014AEC: D86C4C80 D2000015
	ds_read_b32 v211, v21 offset:19648                         // 000000014AF4: D86C4CC0 D3000015
	ds_read_b32 v214, v21 offset:21760                         // 000000014AFC: D86C5500 D6000015
	ds_read_b32 v215, v21 offset:21824                         // 000000014B04: D86C5540 D7000015
	ds_read_b32 v218, v21 offset:23936                         // 000000014B0C: D86C5D80 DA000015
	ds_read_b32 v219, v21 offset:24000                         // 000000014B14: D86C5DC0 DB000015
	ds_read_b32 v222, v21 offset:26112                         // 000000014B1C: D86C6600 DE000015
	ds_read_b32 v223, v21 offset:26176                         // 000000014B24: D86C6640 DF000015
	ds_read_b32 v226, v21 offset:28288                         // 000000014B2C: D86C6E80 E2000015
	ds_read_b32 v227, v21 offset:28352                         // 000000014B34: D86C6EC0 E3000015
	ds_read_b32 v230, v21 offset:30464                         // 000000014B3C: D86C7700 E6000015
	ds_read_b32 v231, v21 offset:30528                         // 000000014B44: D86C7740 E7000015
	ds_read_b32 v234, v21 offset:32640                         // 000000014B4C: D86C7F80 EA000015
	ds_read_b32 v235, v21 offset:32704                         // 000000014B54: D86C7FC0 EB000015
	ds_read_b32 v238, v21 offset:34816                         // 000000014B5C: D86C8800 EE000015
	ds_read_b32 v239, v21 offset:34880                         // 000000014B64: D86C8840 EF000015
	ds_read_b32 v242, v21 offset:36992                         // 000000014B6C: D86C9080 F2000015
	ds_read_b32 v243, v21 offset:37056                         // 000000014B74: D86C90C0 F3000015
	ds_read_b32 v246, v21 offset:39168                         // 000000014B7C: D86C9900 F6000015
	ds_read_b32 v247, v21 offset:39232                         // 000000014B84: D86C9940 F7000015
	ds_read_b32 v250, v21 offset:41344                         // 000000014B8C: D86CA180 FA000015
	ds_read_b32 v251, v21 offset:41408                         // 000000014B94: D86CA1C0 FB000015
	s_waitcnt lgkmcnt(0)                                       // 000000014B9C: BF8CC07F
	v_mov_b32_e32 v7, 0                                        // 000000014BA0: 7E0E0280
	s_mov_b64 exec, s[36:37]                                   // 000000014BA4: BEFE0124
	v_mov_b32_e32 v6, v70                                      // 000000014BA8: 7E0C0346
	s_mov_b64 s[60:61], 0                                      // 000000014BAC: BEBC0180
	v_readlane_b32 s82, v3, 0                                  // 000000014BB0: D2890052 00010103
	s_and_b32 s82, s82, 0xffffff                               // 000000014BB8: 8652FF52 00FFFFFF
	s_cmp_lt_u32 s82, s66                                      // 000000014BC0: BF0A4252
	s_cselect_b32 s20, s36, s60                                // 000000014BC4: 85143C24
	v_readlane_b32 s82, v3, 1                                  // 000000014BC8: D2890052 00010303
	s_and_b32 s82, s82, 0xffffff                               // 000000014BD0: 8652FF52 00FFFFFF
	s_cmp_lt_u32 s82, s66                                      // 000000014BD8: BF0A4252
	s_cselect_b32 s21, s36, s60                                // 000000014BDC: 85153C24
	s_mov_b64 exec, s[20:21]                                   // 000000014BE0: BEFE0114
	global_atomic_add_f32 v6, v174, s[8:9] offset:8            // 000000014BE4: DD348008 0008AE06
	global_atomic_add_f32 v6, v178, s[8:9] offset:264          // 000000014BEC: DD348108 0008B206
	s_mov_b64 exec, s[36:37]                                   // 000000014BF4: BEFE0124
	v_mov_b32_e32 v6, v71                                      // 000000014BF8: 7E0C0347
	s_mov_b64 s[60:61], 0                                      // 000000014BFC: BEBC0180
	v_readlane_b32 s82, v3, 2                                  // 000000014C00: D2890052 00010503
	s_and_b32 s82, s82, 0xffffff                               // 000000014C08: 8652FF52 00FFFFFF
	s_cmp_lt_u32 s82, s66                                      // 000000014C10: BF0A4252
	s_cselect_b32 s20, s36, s60                                // 000000014C14: 85143C24
	v_readlane_b32 s82, v3, 3                                  // 000000014C18: D2890052 00010703
	s_and_b32 s82, s82, 0xffffff                               // 000000014C20: 8652FF52 00FFFFFF
	s_cmp_lt_u32 s82, s66                                      // 000000014C28: BF0A4252
	s_cselect_b32 s21, s36, s60                                // 000000014C2C: 85153C24
	s_mov_b64 exec, s[20:21]                                   // 000000014C30: BEFE0114
	global_atomic_add_f32 v6, v175, s[8:9] offset:8            // 000000014C34: DD348008 0008AF06
	global_atomic_add_f32 v6, v179, s[8:9] offset:264          // 000000014C3C: DD348108 0008B306
	s_mov_b64 exec, s[36:37]                                   // 000000014C44: BEFE0124
	v_mov_b32_e32 v6, v72                                      // 000000014C48: 7E0C0348
	s_mov_b64 s[60:61], 0                                      // 000000014C4C: BEBC0180
	v_readlane_b32 s82, v3, 4                                  // 000000014C50: D2890052 00010903
	s_and_b32 s82, s82, 0xffffff                               // 000000014C58: 8652FF52 00FFFFFF
	s_cmp_lt_u32 s82, s66                                      // 000000014C60: BF0A4252
	s_cselect_b32 s20, s36, s60                                // 000000014C64: 85143C24
	v_readlane_b32 s82, v3, 5                                  // 000000014C68: D2890052 00010B03
	s_and_b32 s82, s82, 0xffffff                               // 000000014C70: 8652FF52 00FFFFFF
	s_cmp_lt_u32 s82, s66                                      // 000000014C78: BF0A4252
	s_cselect_b32 s21, s36, s60                                // 000000014C7C: 85153C24
	s_mov_b64 exec, s[20:21]                                   // 000000014C80: BEFE0114
	global_atomic_add_f32 v6, v182, s[8:9] offset:8            // 000000014C84: DD348008 0008B606
	global_atomic_add_f32 v6, v186, s[8:9] offset:264          // 000000014C8C: DD348108 0008BA06
	s_mov_b64 exec, s[36:37]                                   // 000000014C94: BEFE0124
	v_mov_b32_e32 v6, v73                                      // 000000014C98: 7E0C0349
	s_mov_b64 s[60:61], 0                                      // 000000014C9C: BEBC0180
	v_readlane_b32 s82, v3, 6                                  // 000000014CA0: D2890052 00010D03
	s_and_b32 s82, s82, 0xffffff                               // 000000014CA8: 8652FF52 00FFFFFF
	s_cmp_lt_u32 s82, s66                                      // 000000014CB0: BF0A4252
	s_cselect_b32 s20, s36, s60                                // 000000014CB4: 85143C24
	v_readlane_b32 s82, v3, 7                                  // 000000014CB8: D2890052 00010F03
	s_and_b32 s82, s82, 0xffffff                               // 000000014CC0: 8652FF52 00FFFFFF
	s_cmp_lt_u32 s82, s66                                      // 000000014CC8: BF0A4252
	s_cselect_b32 s21, s36, s60                                // 000000014CCC: 85153C24
	s_mov_b64 exec, s[20:21]                                   // 000000014CD0: BEFE0114
	global_atomic_add_f32 v6, v183, s[8:9] offset:8            // 000000014CD4: DD348008 0008B706
	global_atomic_add_f32 v6, v187, s[8:9] offset:264          // 000000014CDC: DD348108 0008BB06
	s_mov_b64 exec, s[36:37]                                   // 000000014CE4: BEFE0124
	v_mov_b32_e32 v6, v74                                      // 000000014CE8: 7E0C034A
	s_mov_b64 s[60:61], 0                                      // 000000014CEC: BEBC0180
	v_readlane_b32 s82, v3, 8                                  // 000000014CF0: D2890052 00011103
	s_and_b32 s82, s82, 0xffffff                               // 000000014CF8: 8652FF52 00FFFFFF
	s_cmp_lt_u32 s82, s66                                      // 000000014D00: BF0A4252
	s_cselect_b32 s20, s36, s60                                // 000000014D04: 85143C24
	v_readlane_b32 s82, v3, 9                                  // 000000014D08: D2890052 00011303
	s_and_b32 s82, s82, 0xffffff                               // 000000014D10: 8652FF52 00FFFFFF
	s_cmp_lt_u32 s82, s66                                      // 000000014D18: BF0A4252
	s_cselect_b32 s21, s36, s60                                // 000000014D1C: 85153C24
	s_mov_b64 exec, s[20:21]                                   // 000000014D20: BEFE0114
	global_atomic_add_f32 v6, v190, s[8:9] offset:8            // 000000014D24: DD348008 0008BE06
	global_atomic_add_f32 v6, v194, s[8:9] offset:264          // 000000014D2C: DD348108 0008C206
	s_mov_b64 exec, s[36:37]                                   // 000000014D34: BEFE0124
	v_mov_b32_e32 v6, v75                                      // 000000014D38: 7E0C034B
	s_mov_b64 s[60:61], 0                                      // 000000014D3C: BEBC0180
	v_readlane_b32 s82, v3, 10                                 // 000000014D40: D2890052 00011503
	s_and_b32 s82, s82, 0xffffff                               // 000000014D48: 8652FF52 00FFFFFF
	s_cmp_lt_u32 s82, s66                                      // 000000014D50: BF0A4252
	s_cselect_b32 s20, s36, s60                                // 000000014D54: 85143C24
	v_readlane_b32 s82, v3, 11                                 // 000000014D58: D2890052 00011703
	s_and_b32 s82, s82, 0xffffff                               // 000000014D60: 8652FF52 00FFFFFF
	s_cmp_lt_u32 s82, s66                                      // 000000014D68: BF0A4252
	s_cselect_b32 s21, s36, s60                                // 000000014D6C: 85153C24
	s_mov_b64 exec, s[20:21]                                   // 000000014D70: BEFE0114
	global_atomic_add_f32 v6, v191, s[8:9] offset:8            // 000000014D74: DD348008 0008BF06
	global_atomic_add_f32 v6, v195, s[8:9] offset:264          // 000000014D7C: DD348108 0008C306
	s_mov_b64 exec, s[36:37]                                   // 000000014D84: BEFE0124
	v_mov_b32_e32 v6, v76                                      // 000000014D88: 7E0C034C
	s_mov_b64 s[60:61], 0                                      // 000000014D8C: BEBC0180
	v_readlane_b32 s82, v3, 12                                 // 000000014D90: D2890052 00011903
	s_and_b32 s82, s82, 0xffffff                               // 000000014D98: 8652FF52 00FFFFFF
	s_cmp_lt_u32 s82, s66                                      // 000000014DA0: BF0A4252
	s_cselect_b32 s20, s36, s60                                // 000000014DA4: 85143C24
	v_readlane_b32 s82, v3, 13                                 // 000000014DA8: D2890052 00011B03
	s_and_b32 s82, s82, 0xffffff                               // 000000014DB0: 8652FF52 00FFFFFF
	s_cmp_lt_u32 s82, s66                                      // 000000014DB8: BF0A4252
	s_cselect_b32 s21, s36, s60                                // 000000014DBC: 85153C24
	s_mov_b64 exec, s[20:21]                                   // 000000014DC0: BEFE0114
	global_atomic_add_f32 v6, v198, s[8:9] offset:8            // 000000014DC4: DD348008 0008C606
	global_atomic_add_f32 v6, v202, s[8:9] offset:264          // 000000014DCC: DD348108 0008CA06
	s_mov_b64 exec, s[36:37]                                   // 000000014DD4: BEFE0124
	v_mov_b32_e32 v6, v77                                      // 000000014DD8: 7E0C034D
	s_mov_b64 s[60:61], 0                                      // 000000014DDC: BEBC0180
	v_readlane_b32 s82, v3, 14                                 // 000000014DE0: D2890052 00011D03
	s_and_b32 s82, s82, 0xffffff                               // 000000014DE8: 8652FF52 00FFFFFF
	s_cmp_lt_u32 s82, s66                                      // 000000014DF0: BF0A4252
	s_cselect_b32 s20, s36, s60                                // 000000014DF4: 85143C24
	v_readlane_b32 s82, v3, 15                                 // 000000014DF8: D2890052 00011F03
	s_and_b32 s82, s82, 0xffffff                               // 000000014E00: 8652FF52 00FFFFFF
	s_cmp_lt_u32 s82, s66                                      // 000000014E08: BF0A4252
	s_cselect_b32 s21, s36, s60                                // 000000014E0C: 85153C24
	s_mov_b64 exec, s[20:21]                                   // 000000014E10: BEFE0114
	global_atomic_add_f32 v6, v199, s[8:9] offset:8            // 000000014E14: DD348008 0008C706
	global_atomic_add_f32 v6, v203, s[8:9] offset:264          // 000000014E1C: DD348108 0008CB06
	s_mov_b64 exec, s[36:37]                                   // 000000014E24: BEFE0124
	v_mov_b32_e32 v6, v78                                      // 000000014E28: 7E0C034E
	s_mov_b64 s[60:61], 0                                      // 000000014E2C: BEBC0180
	v_readlane_b32 s82, v3, 16                                 // 000000014E30: D2890052 00012103
	s_and_b32 s82, s82, 0xffffff                               // 000000014E38: 8652FF52 00FFFFFF
	s_cmp_lt_u32 s82, s66                                      // 000000014E40: BF0A4252
	s_cselect_b32 s20, s36, s60                                // 000000014E44: 85143C24
	v_readlane_b32 s82, v3, 17                                 // 000000014E48: D2890052 00012303
	s_and_b32 s82, s82, 0xffffff                               // 000000014E50: 8652FF52 00FFFFFF
	s_cmp_lt_u32 s82, s66                                      // 000000014E58: BF0A4252
	s_cselect_b32 s21, s36, s60                                // 000000014E5C: 85153C24
	s_mov_b64 exec, s[20:21]                                   // 000000014E60: BEFE0114
	global_atomic_add_f32 v6, v206, s[8:9] offset:8            // 000000014E64: DD348008 0008CE06
	global_atomic_add_f32 v6, v210, s[8:9] offset:264          // 000000014E6C: DD348108 0008D206
	s_mov_b64 exec, s[36:37]                                   // 000000014E74: BEFE0124
	v_mov_b32_e32 v6, v79                                      // 000000014E78: 7E0C034F
	s_mov_b64 s[60:61], 0                                      // 000000014E7C: BEBC0180
	v_readlane_b32 s82, v3, 18                                 // 000000014E80: D2890052 00012503
	s_and_b32 s82, s82, 0xffffff                               // 000000014E88: 8652FF52 00FFFFFF
	s_cmp_lt_u32 s82, s66                                      // 000000014E90: BF0A4252
	s_cselect_b32 s20, s36, s60                                // 000000014E94: 85143C24
	v_readlane_b32 s82, v3, 19                                 // 000000014E98: D2890052 00012703
	s_and_b32 s82, s82, 0xffffff                               // 000000014EA0: 8652FF52 00FFFFFF
	s_cmp_lt_u32 s82, s66                                      // 000000014EA8: BF0A4252
	s_cselect_b32 s21, s36, s60                                // 000000014EAC: 85153C24
	s_mov_b64 exec, s[20:21]                                   // 000000014EB0: BEFE0114
	global_atomic_add_f32 v6, v207, s[8:9] offset:8            // 000000014EB4: DD348008 0008CF06
	global_atomic_add_f32 v6, v211, s[8:9] offset:264          // 000000014EBC: DD348108 0008D306
	s_mov_b64 exec, s[36:37]                                   // 000000014EC4: BEFE0124
	v_mov_b32_e32 v6, v80                                      // 000000014EC8: 7E0C0350
	s_mov_b64 s[60:61], 0                                      // 000000014ECC: BEBC0180
	v_readlane_b32 s82, v3, 20                                 // 000000014ED0: D2890052 00012903
	s_and_b32 s82, s82, 0xffffff                               // 000000014ED8: 8652FF52 00FFFFFF
	s_cmp_lt_u32 s82, s66                                      // 000000014EE0: BF0A4252
	s_cselect_b32 s20, s36, s60                                // 000000014EE4: 85143C24
	v_readlane_b32 s82, v3, 21                                 // 000000014EE8: D2890052 00012B03
	s_and_b32 s82, s82, 0xffffff                               // 000000014EF0: 8652FF52 00FFFFFF
	s_cmp_lt_u32 s82, s66                                      // 000000014EF8: BF0A4252
	s_cselect_b32 s21, s36, s60                                // 000000014EFC: 85153C24
	s_mov_b64 exec, s[20:21]                                   // 000000014F00: BEFE0114
	global_atomic_add_f32 v6, v214, s[8:9] offset:8            // 000000014F04: DD348008 0008D606
	global_atomic_add_f32 v6, v218, s[8:9] offset:264          // 000000014F0C: DD348108 0008DA06
	s_mov_b64 exec, s[36:37]                                   // 000000014F14: BEFE0124
	v_mov_b32_e32 v6, v81                                      // 000000014F18: 7E0C0351
	s_mov_b64 s[60:61], 0                                      // 000000014F1C: BEBC0180
	v_readlane_b32 s82, v3, 22                                 // 000000014F20: D2890052 00012D03
	s_and_b32 s82, s82, 0xffffff                               // 000000014F28: 8652FF52 00FFFFFF
	s_cmp_lt_u32 s82, s66                                      // 000000014F30: BF0A4252
	s_cselect_b32 s20, s36, s60                                // 000000014F34: 85143C24
	v_readlane_b32 s82, v3, 23                                 // 000000014F38: D2890052 00012F03
	s_and_b32 s82, s82, 0xffffff                               // 000000014F40: 8652FF52 00FFFFFF
	s_cmp_lt_u32 s82, s66                                      // 000000014F48: BF0A4252
	s_cselect_b32 s21, s36, s60                                // 000000014F4C: 85153C24
	s_mov_b64 exec, s[20:21]                                   // 000000014F50: BEFE0114
	global_atomic_add_f32 v6, v215, s[8:9] offset:8            // 000000014F54: DD348008 0008D706
	global_atomic_add_f32 v6, v219, s[8:9] offset:264          // 000000014F5C: DD348108 0008DB06
	s_mov_b64 exec, s[36:37]                                   // 000000014F64: BEFE0124
	v_mov_b32_e32 v6, v82                                      // 000000014F68: 7E0C0352
	s_mov_b64 s[60:61], 0                                      // 000000014F6C: BEBC0180
	v_readlane_b32 s82, v3, 24                                 // 000000014F70: D2890052 00013103
	s_and_b32 s82, s82, 0xffffff                               // 000000014F78: 8652FF52 00FFFFFF
	s_cmp_lt_u32 s82, s66                                      // 000000014F80: BF0A4252
	s_cselect_b32 s20, s36, s60                                // 000000014F84: 85143C24
	v_readlane_b32 s82, v3, 25                                 // 000000014F88: D2890052 00013303
	s_and_b32 s82, s82, 0xffffff                               // 000000014F90: 8652FF52 00FFFFFF
	s_cmp_lt_u32 s82, s66                                      // 000000014F98: BF0A4252
	s_cselect_b32 s21, s36, s60                                // 000000014F9C: 85153C24
	s_mov_b64 exec, s[20:21]                                   // 000000014FA0: BEFE0114
	global_atomic_add_f32 v6, v222, s[8:9] offset:8            // 000000014FA4: DD348008 0008DE06
	global_atomic_add_f32 v6, v226, s[8:9] offset:264          // 000000014FAC: DD348108 0008E206
	s_mov_b64 exec, s[36:37]                                   // 000000014FB4: BEFE0124
	v_mov_b32_e32 v6, v83                                      // 000000014FB8: 7E0C0353
	s_mov_b64 s[60:61], 0                                      // 000000014FBC: BEBC0180
	v_readlane_b32 s82, v3, 26                                 // 000000014FC0: D2890052 00013503
	s_and_b32 s82, s82, 0xffffff                               // 000000014FC8: 8652FF52 00FFFFFF
	s_cmp_lt_u32 s82, s66                                      // 000000014FD0: BF0A4252
	s_cselect_b32 s20, s36, s60                                // 000000014FD4: 85143C24
	v_readlane_b32 s82, v3, 27                                 // 000000014FD8: D2890052 00013703
	s_and_b32 s82, s82, 0xffffff                               // 000000014FE0: 8652FF52 00FFFFFF
	s_cmp_lt_u32 s82, s66                                      // 000000014FE8: BF0A4252
	s_cselect_b32 s21, s36, s60                                // 000000014FEC: 85153C24
	s_mov_b64 exec, s[20:21]                                   // 000000014FF0: BEFE0114
	global_atomic_add_f32 v6, v223, s[8:9] offset:8            // 000000014FF4: DD348008 0008DF06
	global_atomic_add_f32 v6, v227, s[8:9] offset:264          // 000000014FFC: DD348108 0008E306
	s_mov_b64 exec, s[36:37]                                   // 000000015004: BEFE0124
	v_mov_b32_e32 v6, v84                                      // 000000015008: 7E0C0354
	s_mov_b64 s[60:61], 0                                      // 00000001500C: BEBC0180
	v_readlane_b32 s82, v3, 28                                 // 000000015010: D2890052 00013903
	s_and_b32 s82, s82, 0xffffff                               // 000000015018: 8652FF52 00FFFFFF
	s_cmp_lt_u32 s82, s66                                      // 000000015020: BF0A4252
	s_cselect_b32 s20, s36, s60                                // 000000015024: 85143C24
	v_readlane_b32 s82, v3, 29                                 // 000000015028: D2890052 00013B03
	s_and_b32 s82, s82, 0xffffff                               // 000000015030: 8652FF52 00FFFFFF
	s_cmp_lt_u32 s82, s66                                      // 000000015038: BF0A4252
	s_cselect_b32 s21, s36, s60                                // 00000001503C: 85153C24
	s_mov_b64 exec, s[20:21]                                   // 000000015040: BEFE0114
	global_atomic_add_f32 v6, v230, s[8:9] offset:8            // 000000015044: DD348008 0008E606
	global_atomic_add_f32 v6, v234, s[8:9] offset:264          // 00000001504C: DD348108 0008EA06
	s_mov_b64 exec, s[36:37]                                   // 000000015054: BEFE0124
	v_mov_b32_e32 v6, v85                                      // 000000015058: 7E0C0355
	s_mov_b64 s[60:61], 0                                      // 00000001505C: BEBC0180
	v_readlane_b32 s82, v3, 30                                 // 000000015060: D2890052 00013D03
	s_and_b32 s82, s82, 0xffffff                               // 000000015068: 8652FF52 00FFFFFF
	s_cmp_lt_u32 s82, s66                                      // 000000015070: BF0A4252
	s_cselect_b32 s20, s36, s60                                // 000000015074: 85143C24
	v_readlane_b32 s82, v3, 31                                 // 000000015078: D2890052 00013F03
	s_and_b32 s82, s82, 0xffffff                               // 000000015080: 8652FF52 00FFFFFF
	s_cmp_lt_u32 s82, s66                                      // 000000015088: BF0A4252
	s_cselect_b32 s21, s36, s60                                // 00000001508C: 85153C24
	s_mov_b64 exec, s[20:21]                                   // 000000015090: BEFE0114
	global_atomic_add_f32 v6, v231, s[8:9] offset:8            // 000000015094: DD348008 0008E706
	global_atomic_add_f32 v6, v235, s[8:9] offset:264          // 00000001509C: DD348108 0008EB06
	s_mov_b64 exec, s[36:37]                                   // 0000000150A4: BEFE0124
	v_mov_b32_e32 v6, v86                                      // 0000000150A8: 7E0C0356
	s_mov_b64 s[60:61], 0                                      // 0000000150AC: BEBC0180
	v_readlane_b32 s82, v3, 32                                 // 0000000150B0: D2890052 00014103
	s_and_b32 s82, s82, 0xffffff                               // 0000000150B8: 8652FF52 00FFFFFF
	s_cmp_lt_u32 s82, s66                                      // 0000000150C0: BF0A4252
	s_cselect_b32 s20, s36, s60                                // 0000000150C4: 85143C24
	v_readlane_b32 s82, v3, 33                                 // 0000000150C8: D2890052 00014303
	s_and_b32 s82, s82, 0xffffff                               // 0000000150D0: 8652FF52 00FFFFFF
	s_cmp_lt_u32 s82, s66                                      // 0000000150D8: BF0A4252
	s_cselect_b32 s21, s36, s60                                // 0000000150DC: 85153C24
	s_mov_b64 exec, s[20:21]                                   // 0000000150E0: BEFE0114
	global_atomic_add_f32 v6, v238, s[8:9] offset:8            // 0000000150E4: DD348008 0008EE06
	global_atomic_add_f32 v6, v242, s[8:9] offset:264          // 0000000150EC: DD348108 0008F206
	s_mov_b64 exec, s[36:37]                                   // 0000000150F4: BEFE0124
	v_mov_b32_e32 v6, v87                                      // 0000000150F8: 7E0C0357
	s_mov_b64 s[60:61], 0                                      // 0000000150FC: BEBC0180
	v_readlane_b32 s82, v3, 34                                 // 000000015100: D2890052 00014503
	s_and_b32 s82, s82, 0xffffff                               // 000000015108: 8652FF52 00FFFFFF
	s_cmp_lt_u32 s82, s66                                      // 000000015110: BF0A4252
	s_cselect_b32 s20, s36, s60                                // 000000015114: 85143C24
	v_readlane_b32 s82, v3, 35                                 // 000000015118: D2890052 00014703
	s_and_b32 s82, s82, 0xffffff                               // 000000015120: 8652FF52 00FFFFFF
	s_cmp_lt_u32 s82, s66                                      // 000000015128: BF0A4252
	s_cselect_b32 s21, s36, s60                                // 00000001512C: 85153C24
	s_mov_b64 exec, s[20:21]                                   // 000000015130: BEFE0114
	global_atomic_add_f32 v6, v239, s[8:9] offset:8            // 000000015134: DD348008 0008EF06
	global_atomic_add_f32 v6, v243, s[8:9] offset:264          // 00000001513C: DD348108 0008F306
	s_mov_b64 exec, s[36:37]                                   // 000000015144: BEFE0124
	v_mov_b32_e32 v6, v88                                      // 000000015148: 7E0C0358
	s_mov_b64 s[60:61], 0                                      // 00000001514C: BEBC0180
	v_readlane_b32 s82, v3, 36                                 // 000000015150: D2890052 00014903
	s_and_b32 s82, s82, 0xffffff                               // 000000015158: 8652FF52 00FFFFFF
	s_cmp_lt_u32 s82, s66                                      // 000000015160: BF0A4252
	s_cselect_b32 s20, s36, s60                                // 000000015164: 85143C24
	v_readlane_b32 s82, v3, 37                                 // 000000015168: D2890052 00014B03
	s_and_b32 s82, s82, 0xffffff                               // 000000015170: 8652FF52 00FFFFFF
	s_cmp_lt_u32 s82, s66                                      // 000000015178: BF0A4252
	s_cselect_b32 s21, s36, s60                                // 00000001517C: 85153C24
	s_mov_b64 exec, s[20:21]                                   // 000000015180: BEFE0114
	global_atomic_add_f32 v6, v246, s[8:9] offset:8            // 000000015184: DD348008 0008F606
	global_atomic_add_f32 v6, v250, s[8:9] offset:264          // 00000001518C: DD348108 0008FA06
	s_mov_b64 exec, s[36:37]                                   // 000000015194: BEFE0124
	v_mov_b32_e32 v6, v89                                      // 000000015198: 7E0C0359
	s_mov_b64 s[60:61], 0                                      // 00000001519C: BEBC0180
	v_readlane_b32 s82, v3, 38                                 // 0000000151A0: D2890052 00014D03
	s_and_b32 s82, s82, 0xffffff                               // 0000000151A8: 8652FF52 00FFFFFF
	s_cmp_lt_u32 s82, s66                                      // 0000000151B0: BF0A4252
	s_cselect_b32 s20, s36, s60                                // 0000000151B4: 85143C24
	v_readlane_b32 s82, v3, 39                                 // 0000000151B8: D2890052 00014F03
	s_and_b32 s82, s82, 0xffffff                               // 0000000151C0: 8652FF52 00FFFFFF
	s_cmp_lt_u32 s82, s66                                      // 0000000151C8: BF0A4252
	s_cselect_b32 s21, s36, s60                                // 0000000151CC: 85153C24
	s_mov_b64 exec, s[20:21]                                   // 0000000151D0: BEFE0114
	global_atomic_add_f32 v6, v247, s[8:9] offset:8            // 0000000151D4: DD348008 0008F706
	global_atomic_add_f32 v6, v251, s[8:9] offset:264          // 0000000151DC: DD348108 0008FB06
	s_mov_b64 exec, s[36:37]                                   // 0000000151E4: BEFE0124
	s_branch label_49FE                                        // 0000000151E8: BF820000

00000000000151ec <label_49FE>:
	s_waitcnt vmcnt(0) expcnt(0) lgkmcnt(0)                    // 0000000151EC: BF8C0000
	s_endpgm                                                   // 0000000151F0: BF810000
